;; amdgpu-corpus repo=ROCm/rccl kind=compiled arch=gfx1030 opt=O3
	.amdgcn_target "amdgcn-amd-amdhsa--gfx1030"
	.amdhsa_code_object_version 6
	.text
	.protected	_Z23ncclDevKernel_Generic_124ncclDevKernelArgsStorageILm4096EE ; -- Begin function _Z23ncclDevKernel_Generic_124ncclDevKernelArgsStorageILm4096EE
	.globl	_Z23ncclDevKernel_Generic_124ncclDevKernelArgsStorageILm4096EE
	.p2align	8
	.type	_Z23ncclDevKernel_Generic_124ncclDevKernelArgsStorageILm4096EE,@function
_Z23ncclDevKernel_Generic_124ncclDevKernelArgsStorageILm4096EE: ; @_Z23ncclDevKernel_Generic_124ncclDevKernelArgsStorageILm4096EE
; %bb.0:
	s_add_u32 s12, s12, s17
	s_mov_b32 s32, 0
	s_addc_u32 s13, s13, 0
	s_setreg_b32 hwreg(HW_REG_FLAT_SCR_LO), s12
	s_setreg_b32 hwreg(HW_REG_FLAT_SCR_HI), s13
	s_add_u32 s0, s0, s17
	s_addc_u32 s1, s1, 0
	s_mov_b32 s33, s16
	s_mov_b32 s50, s15
	;; [unrolled: 1-line block ×3, first 2 shown]
	s_mov_b64 s[34:35], s[10:11]
	s_mov_b64 s[36:37], s[8:9]
	;; [unrolled: 1-line block ×4, first 2 shown]
	s_mov_b32 s4, exec_lo
	v_cmpx_gt_u32_e32 12, v0
	s_cbranch_execz .LBB0_2
; %bb.1:
	v_lshlrev_b32_e32 v3, 2, v0
	global_load_dword v4, v3, s[36:37]
	s_waitcnt vmcnt(0)
	ds_write_b32 v3, v4 offset:16512
.LBB0_2:
	s_or_b32 exec_lo, exec_lo, s4
	s_load_dword s8, s[36:37], 0x100c
	v_lshrrev_b32_e32 v12, 5, v0
	v_mov_b32_e32 v5, v0
	s_mov_b32 s4, exec_lo
	v_cmpx_lt_i32_e32 0, v12
	s_xor_b32 s4, exec_lo, s4
	s_cbranch_execz .LBB0_16
; %bb.3:
	s_mov_b32 s5, exec_lo
	v_cmpx_lt_i32_e32 2, v12
	s_xor_b32 s5, exec_lo, s5
	s_cbranch_execz .LBB0_8
; %bb.4:
	s_mov_b32 s6, exec_lo
	v_cmpx_eq_u32_e32 3, v12
	s_cbranch_execz .LBB0_7
; %bb.5:
	v_cmp_eq_u32_e32 vcc_lo, 0x60, v0
	s_and_b32 exec_lo, exec_lo, vcc_lo
; %bb.6:
	v_mov_b32_e32 v3, 0
	ds_write_b32 v3, v3 offset:16564
.LBB0_7:
	s_or_b32 exec_lo, exec_lo, s6
.LBB0_8:
	s_andn2_saveexec_b32 s5, s5
	s_cbranch_execz .LBB0_15
; %bb.9:
	s_mov_b32 s6, exec_lo
	v_cmpx_eq_u32_e32 1, v12
	s_cbranch_execz .LBB0_14
; %bb.10:
	v_cmp_gt_u32_e32 vcc_lo, 40, v0
	s_and_b32 exec_lo, exec_lo, vcc_lo
	s_cbranch_execz .LBB0_14
; %bb.11:
	s_mov_b32 s7, exec_lo
	v_cmpx_eq_u32_e32 32, v0
; %bb.12:
	v_mov_b32_e32 v3, 0
	v_mov_b32_e32 v4, v3
	ds_write_b64 v3, v[3:4] offset:21208
; %bb.13:
	s_or_b32 exec_lo, exec_lo, s7
	v_mov_b32_e32 v3, 0
	v_mul_u32_u24_e32 v5, 0x160, v0
	v_mov_b32_e32 v4, v3
	ds_write_b64 v5, v[3:4] offset:6104
.LBB0_14:
	s_or_b32 exec_lo, exec_lo, s6
.LBB0_15:
	s_or_b32 exec_lo, exec_lo, s5
                                        ; implicit-def: $vgpr5
.LBB0_16:
	s_andn2_saveexec_b32 s9, s4
	s_cbranch_execz .LBB0_22
; %bb.17:
	s_load_dwordx2 s[6:7], s[36:37], 0x8
	v_lshlrev_b64 v[3:4], v0, 1
	s_mov_b32 s10, 0
	s_mov_b32 s5, exec_lo
	s_waitcnt lgkmcnt(0)
	v_and_b32_e32 v7, s7, v4
	v_and_b32_e32 v6, s6, v3
	v_cmp_eq_u64_e64 s4, 0, v[6:7]
	v_cmpx_ne_u64_e32 0, v[6:7]
	s_cbranch_execz .LBB0_56
; %bb.18:
	v_add_co_u32 v3, vcc_lo, v3, -1
	v_add_co_ci_u32_e64 v4, null, -1, v4, vcc_lo
	s_andn2_b32 s4, s4, exec_lo
	v_and_b32_e32 v3, s6, v3
	s_mov_b32 s10, exec_lo
	v_and_b32_e32 v4, s7, v4
	v_bcnt_u32_b32 v3, v3, 0
	v_bcnt_u32_b32 v3, v4, v3
	v_cmp_ne_u32_e32 vcc_lo, s51, v3
	s_and_b32 s11, vcc_lo, exec_lo
	s_or_b32 s4, s4, s11
	s_or_b32 exec_lo, exec_lo, s5
	v_mov_b32_e32 v3, 0
	s_and_saveexec_b32 s11, s4
	s_cbranch_execnz .LBB0_57
.LBB0_19:
	s_or_b32 exec_lo, exec_lo, s11
	s_and_saveexec_b32 s4, s10
.LBB0_20:
	v_add_nc_u32_e32 v3, v3, v5
	v_mov_b32_e32 v4, 0
	ds_write_b32 v4, v3 offset:16560
.LBB0_21:
	s_or_b32 exec_lo, exec_lo, s4
.LBB0_22:
	s_or_b32 exec_lo, exec_lo, s9
	v_cmp_eq_u32_e64 s52, 0, v0
	s_waitcnt lgkmcnt(0)
	s_barrier
	buffer_gl0_inv
	s_and_saveexec_b32 s4, s52
	s_cbranch_execz .LBB0_24
; %bb.23:
	v_mov_b32_e32 v5, 0
	ds_read_b32 v6, v5 offset:16560
	ds_read_b64 v[3:4], v5 offset:16512
	s_waitcnt lgkmcnt(1)
	v_mul_lo_u32 v7, 0x180, v6
	v_mul_hi_i32 v6, 0x180, v6
	s_waitcnt lgkmcnt(0)
	v_add_co_u32 v3, vcc_lo, v3, v7
	v_add_co_ci_u32_e64 v4, null, v4, v6, vcc_lo
	flat_load_dwordx2 v[3:4], v[3:4] offset:464
	ds_write_b32 v5, v5 offset:16564
	s_waitcnt vmcnt(0) lgkmcnt(1)
	ds_write_b64 v5, v[3:4] offset:17040
.LBB0_24:
	s_or_b32 exec_lo, exec_lo, s4
	s_and_b32 s54, 0xffff, s8
	s_mov_b32 s4, exec_lo
	v_cmpx_lt_i32_e32 0, v12
	s_xor_b32 s10, exec_lo, s4
	s_cbranch_execz .LBB0_71
; %bb.25:
	s_mov_b32 s4, exec_lo
	v_cmpx_ne_u32_e32 1, v12
	s_xor_b32 s11, exec_lo, s4
	s_cbranch_execz .LBB0_66
; %bb.26:
	v_subrev_nc_u32_e32 v19, 64, v0
	v_mul_u32_u24_e32 v14, 0x810, v12
	v_mov_b32_e32 v18, 0
	s_sub_i32 s12, s54, 64
	s_mov_b32 s13, 0
	v_lshrrev_b16 v3, 11, v19
	s_mov_b32 s6, s51
	v_add_nc_u16 v3, v19, v3
	v_and_b32_e32 v3, 0xffffffe0, v3
	v_sub_nc_u16 v13, v19, v3
	v_and_b32_e32 v3, 0xffff, v13
	v_add_nc_u16 v15, v13, 32
	v_lshlrev_b32_e64 v16, v3, 1
	v_bfm_b32 v17, v3, 0
                                        ; implicit-def: $vgpr3_vgpr4_vgpr5_vgpr6
	s_branch .LBB0_29
.LBB0_27:                               ;   in Loop: Header=BB0_29 Depth=1
	s_or_b32 exec_lo, exec_lo, s9
	v_mov_b32_e32 v7, v19
	s_mov_b32 s9, s6
.LBB0_28:                               ;   in Loop: Header=BB0_29 Depth=1
	v_mov_b32_e32 v19, v7
	s_andn2_b32 vcc_lo, exec_lo, s5
	s_mov_b32 s6, s9
	s_cbranch_vccz .LBB0_66
.LBB0_29:                               ; =>This Inner Loop Header: Depth=1
	s_ashr_i32 s7, s6, 31
	s_lshl_b64 s[4:5], s[6:7], 4
	s_mov_b32 s7, exec_lo
	s_add_u32 s8, s36, s4
	s_addc_u32 s9, s37, s5
	s_load_dwordx2 s[4:5], s[8:9], 0x38
	s_waitcnt lgkmcnt(0)
	v_and_b32_e32 v7, s4, v16
	v_cmpx_ne_u32_e32 0, v7
; %bb.30:                               ;   in Loop: Header=BB0_29 Depth=1
	v_and_b32_e32 v7, s4, v17
	v_bcnt_u32_b32 v7, v7, v14
	ds_write_b8 v7, v13
; %bb.31:                               ;   in Loop: Header=BB0_29 Depth=1
	s_or_b32 exec_lo, exec_lo, s7
	s_load_dwordx2 s[8:9], s[8:9], 0x30
	v_and_b32_e32 v7, s5, v16
	s_bcnt1_i32_b32 s4, s4
	s_mov_b32 s7, exec_lo
	v_cmpx_ne_u32_e32 0, v7
	s_cbranch_execz .LBB0_33
; %bb.32:                               ;   in Loop: Header=BB0_29 Depth=1
	v_and_b32_e32 v7, s5, v17
	v_bcnt_u32_b32 v7, v7, 0
	v_add3_u32 v7, v14, s4, v7
	ds_write_b8 v7, v15
.LBB0_33:                               ;   in Loop: Header=BB0_29 Depth=1
	s_or_b32 exec_lo, exec_lo, s7
	s_bcnt1_i32_b32 s14, s5
	s_waitcnt lgkmcnt(0)
	s_bfe_u32 s7, s8, 0x2000f
	s_add_i32 s14, s14, s4
	s_cmp_lt_i32 s7, 1
	s_mov_b32 s4, -1
                                        ; implicit-def: $vgpr20
                                        ; implicit-def: $vgpr21
                                        ; implicit-def: $vgpr7
                                        ; implicit-def: $vgpr22
	s_cbranch_scc1 .LBB0_41
; %bb.34:                               ;   in Loop: Header=BB0_29 Depth=1
	s_cmp_lg_u32 s7, 1
                                        ; implicit-def: $vgpr20
                                        ; implicit-def: $vgpr21
                                        ; implicit-def: $vgpr7
	s_cbranch_scc0 .LBB0_36
; %bb.35:                               ;   in Loop: Header=BB0_29 Depth=1
	v_mul_hi_i32 v7, 0x66666667, v19
	s_mov_b32 s4, 0
	v_lshrrev_b32_e32 v8, 31, v7
	v_ashrrev_i32_e32 v7, 3, v7
	v_add_nc_u32_e32 v20, v7, v8
	v_mul_u32_u24_e64 v7, s14, 20
	v_mul_lo_u32 v8, v20, 20
	v_sub_nc_u32_e32 v21, v19, v8
.LBB0_36:                               ;   in Loop: Header=BB0_29 Depth=1
	s_andn2_b32 vcc_lo, exec_lo, s4
	s_movk_i32 s4, 0x140
	s_cbranch_vccnz .LBB0_38
; %bb.37:                               ;   in Loop: Header=BB0_29 Depth=1
	v_ashrrev_i32_e32 v7, 31, v19
	s_lshl_b32 s4, s14, 3
	v_lshrrev_b32_e32 v7, 29, v7
	v_add_nc_u32_e32 v7, v19, v7
	v_and_b32_e32 v8, -8, v7
	v_ashrrev_i32_e32 v20, 3, v7
	v_mov_b32_e32 v7, s4
	s_movk_i32 s4, 0x80
	v_sub_nc_u32_e32 v21, v19, v8
.LBB0_38:                               ;   in Loop: Header=BB0_29 Depth=1
	v_mov_b32_e32 v22, s4
	s_cbranch_execz .LBB0_42
.LBB0_39:                               ;   in Loop: Header=BB0_29 Depth=1
	v_cmp_eq_u32_e64 s4, 0, v19
	s_and_saveexec_b32 s5, s4
	s_cbranch_execz .LBB0_43
.LBB0_40:                               ;   in Loop: Header=BB0_29 Depth=1
	ds_write_b32 v18, v22 offset:17072
	s_or_b32 exec_lo, exec_lo, s5
	s_mov_b32 s15, exec_lo
	v_cmpx_lt_i32_e64 v19, v7
	s_cbranch_execz .LBB0_51
	s_branch .LBB0_44
.LBB0_41:                               ;   in Loop: Header=BB0_29 Depth=1
	s_andn2_b32 vcc_lo, exec_lo, s4
	s_cbranch_vccnz .LBB0_39
.LBB0_42:                               ;   in Loop: Header=BB0_29 Depth=1
	v_ashrrev_i32_e32 v7, 31, v19
	s_lshl_b32 s4, s14, 2
	v_mov_b32_e32 v22, 64
	v_lshrrev_b32_e32 v7, 30, v7
	v_add_nc_u32_e32 v7, v19, v7
	v_and_b32_e32 v8, -4, v7
	v_ashrrev_i32_e32 v20, 2, v7
	v_mov_b32_e32 v7, s4
	v_sub_nc_u32_e32 v21, v19, v8
	v_cmp_eq_u32_e64 s4, 0, v19
	s_and_saveexec_b32 s5, s4
	s_cbranch_execnz .LBB0_40
.LBB0_43:                               ;   in Loop: Header=BB0_29 Depth=1
	s_or_b32 exec_lo, exec_lo, s5
	s_mov_b32 s15, exec_lo
	v_cmpx_lt_i32_e64 v19, v7
	s_cbranch_execz .LBB0_51
.LBB0_44:                               ;   in Loop: Header=BB0_29 Depth=1
	ds_read_u8 v7, v18 offset:16536
	v_add_nc_u32_e32 v8, v14, v20
	ds_read_u8 v23, v8
	s_waitcnt lgkmcnt(1)
	v_cmp_ne_u32_e64 s5, 0, v7
	s_and_b32 vcc_lo, exec_lo, s5
	s_cbranch_vccz .LBB0_47
; %bb.45:                               ;   in Loop: Header=BB0_29 Depth=1
	s_and_b32 vcc_lo, exec_lo, s5
	s_mov_b32 s5, -1
                                        ; implicit-def: $vgpr7_vgpr8_vgpr9_vgpr10
                                        ; implicit-def: $vgpr11
	s_cbranch_vccz .LBB0_48
.LBB0_46:                               ;   in Loop: Header=BB0_29 Depth=1
	ds_read_b32 v9, v18 offset:16540
	ds_read_b64 v[7:8], v18 offset:16544
	s_waitcnt lgkmcnt(2)
	v_mul_u32_u24_e32 v10, v22, v23
	v_lshlrev_b32_e32 v11, 4, v21
	v_add3_u32 v10, v11, s9, v10
	s_waitcnt lgkmcnt(1)
	v_and_b32_e32 v9, v9, v10
	s_waitcnt lgkmcnt(0)
	v_add_co_u32 v7, vcc_lo, v7, v9
	v_add_co_ci_u32_e64 v8, null, 0, v8, vcc_lo
	flat_load_dwordx4 v[7:10], v[7:8]
	s_cbranch_execz .LBB0_49
	s_branch .LBB0_50
.LBB0_47:                               ;   in Loop: Header=BB0_29 Depth=1
	v_lshlrev_b32_e32 v3, 4, v21
	s_waitcnt lgkmcnt(0)
	v_mul_u32_u24_e32 v4, v22, v23
	v_add3_u32 v3, v3, s9, v4
	global_load_dwordx4 v[3:6], v3, s[36:37]
	s_and_b32 vcc_lo, exec_lo, s5
	s_mov_b32 s5, -1
                                        ; implicit-def: $vgpr7_vgpr8_vgpr9_vgpr10
                                        ; implicit-def: $vgpr11
	s_cbranch_vccnz .LBB0_46
.LBB0_48:                               ;   in Loop: Header=BB0_29 Depth=1
	s_andn2_b32 vcc_lo, exec_lo, s5
	s_cbranch_vccnz .LBB0_50
.LBB0_49:                               ;   in Loop: Header=BB0_29 Depth=1
	s_waitcnt vmcnt(0) lgkmcnt(0)
	v_mov_b32_e32 v10, v6
	v_lshlrev_b32_e32 v11, 4, v21
	v_mov_b32_e32 v9, v5
	v_mov_b32_e32 v8, v4
	;; [unrolled: 1-line block ×3, first 2 shown]
.LBB0_50:                               ;   in Loop: Header=BB0_29 Depth=1
	s_waitcnt vmcnt(0)
	v_add_nc_u32_e32 v3, s13, v20
	v_mad_u64_u32 v[20:21], null, v3, v22, v[11:12]
	s_waitcnt lgkmcnt(0)
	v_mov_b32_e32 v3, v7
	v_mov_b32_e32 v4, v8
	;; [unrolled: 1-line block ×4, first 2 shown]
	ds_write_b128 v20, v[7:10] offset:20176
.LBB0_51:                               ;   in Loop: Header=BB0_29 Depth=1
	s_or_b32 exec_lo, exec_lo, s15
	s_bitcmp0_b32 s8, 14
	v_readfirstlane_b32 s9, v0
	s_cselect_b32 s5, -1, 0
	s_mov_b32 s15, -1
	s_and_b32 vcc_lo, exec_lo, s5
                                        ; implicit-def: $vgpr7
	s_cbranch_vccnz .LBB0_53
; %bb.52:                               ;   in Loop: Header=BB0_29 Depth=1
	v_cmp_gt_i32_e32 vcc_lo, 64, v19
	s_and_b32 s9, s8, 0x3fff
	s_add_i32 s9, s9, s6
	v_cndmask_b32_e64 v7, 0, s12, vcc_lo
	v_add3_u32 v7, v19, v7, 0xffffffc0
	s_add_i32 s13, s14, s13
	s_cbranch_execnz .LBB0_28
	s_branch .LBB0_54
.LBB0_53:                               ;   in Loop: Header=BB0_29 Depth=1
	s_andn2_b32 vcc_lo, exec_lo, s15
	s_add_i32 s13, s14, s13
	s_cbranch_vccnz .LBB0_28
.LBB0_54:                               ;   in Loop: Header=BB0_29 Depth=1
	s_and_saveexec_b32 s9, s4
	s_cbranch_execz .LBB0_27
; %bb.55:                               ;   in Loop: Header=BB0_29 Depth=1
	s_and_b32 s4, s8, 0x3fff
	v_mov_b32_e32 v9, s7
	s_add_i32 s14, s4, s6
	s_cmp_lg_u32 s4, 0
	v_mov_b32_e32 v19, 0
	s_cselect_b32 s4, s14, -1
	v_mov_b32_e32 v7, s6
	s_lshr_b32 s7, s8, 17
	v_mov_b32_e32 v8, s4
	v_mov_b32_e32 v10, s13
	;; [unrolled: 1-line block ×3, first 2 shown]
	ds_write_b8 v18, v9 offset:17064
	ds_write_b64 v18, v[7:8] offset:17056
	ds_write_b32 v18, v10 offset:17068
	ds_write_b16 v18, v11 offset:17066
	s_branch .LBB0_27
.LBB0_56:
	s_or_b32 exec_lo, exec_lo, s5
	v_mov_b32_e32 v3, 0
	s_and_saveexec_b32 s11, s4
	s_cbranch_execz .LBB0_19
.LBB0_57:
	v_add_nc_u32_e32 v5, 32, v0
	v_lshlrev_b64 v[3:4], v5, 1
	v_and_b32_e32 v7, s7, v4
	v_and_b32_e32 v6, s6, v3
	v_cmp_eq_u64_e64 s5, 0, v[6:7]
	v_cmp_ne_u64_e32 vcc_lo, 0, v[6:7]
	v_add_co_u32 v6, s4, v3, -1
	v_add_co_ci_u32_e64 v7, null, -1, v4, s4
	s_and_saveexec_b32 s4, vcc_lo
	s_cbranch_execz .LBB0_61
; %bb.58:
	v_and_b32_e32 v8, s6, v6
	v_and_b32_e32 v9, s7, v7
	s_mov_b32 s12, -1
	s_mov_b32 s13, exec_lo
	v_bcnt_u32_b32 v8, v8, 0
	v_bcnt_u32_b32 v9, v9, v8
	v_mov_b32_e32 v8, 0
	v_cmpx_eq_u32_e64 s51, v9
; %bb.59:
	s_xor_b32 s12, exec_lo, -1
	ds_write_b32 v8, v5 offset:16560
; %bb.60:
	s_or_b32 exec_lo, exec_lo, s13
	s_andn2_b32 s5, s5, exec_lo
	s_and_b32 s12, s12, exec_lo
	s_or_b32 s5, s5, s12
.LBB0_61:
	s_or_b32 exec_lo, exec_lo, s4
	s_mov_b32 s4, 0
                                        ; implicit-def: $sgpr13
	s_and_saveexec_b32 s12, s5
	s_cbranch_execz .LBB0_65
; %bb.62:
	s_load_dwordx2 s[4:5], s[36:37], 0x10
	s_mov_b32 s15, 0
	s_mov_b32 s14, exec_lo
                                        ; implicit-def: $sgpr13
	s_waitcnt lgkmcnt(0)
	v_and_b32_e32 v4, s5, v4
	v_and_b32_e32 v3, s4, v3
	v_cmpx_ne_u64_e32 0, v[3:4]
	s_xor_b32 s14, exec_lo, s14
	s_cbranch_execz .LBB0_64
; %bb.63:
	v_and_b32_e32 v3, s4, v6
	v_and_b32_e32 v4, s5, v7
	s_bcnt1_i32_b64 s13, s[6:7]
	v_bcnt_u32_b32 v3, v3, 0
	v_bcnt_u32_b32 v3, v4, v3
	v_add_nc_u32_e32 v3, s13, v3
	v_cmp_eq_u32_e32 vcc_lo, s51, v3
	s_and_b32 s15, vcc_lo, exec_lo
.LBB0_64:
	s_or_b32 exec_lo, exec_lo, s14
	s_and_b32 s4, s15, exec_lo
.LBB0_65:
	s_or_b32 exec_lo, exec_lo, s12
	v_mov_b32_e32 v3, s13
	s_andn2_b32 s5, s10, exec_lo
	s_and_b32 s4, s4, exec_lo
	s_or_b32 s10, s5, s4
	s_or_b32 exec_lo, exec_lo, s11
	s_and_saveexec_b32 s4, s10
	s_cbranch_execnz .LBB0_20
	s_branch .LBB0_21
.LBB0_66:
	s_andn2_saveexec_b32 s4, s11
	s_cbranch_execz .LBB0_70
; %bb.67:
	s_mov_b32 s5, exec_lo
	v_cmpx_gt_u32_e32 56, v0
	s_cbranch_execz .LBB0_69
; %bb.68:
	v_mov_b32_e32 v3, 0
	v_lshlrev_b32_e32 v7, 4, v0
	ds_read_b32 v5, v3 offset:16560
	ds_read_b64 v[3:4], v3 offset:16512
	v_add_nc_u32_e32 v8, 0xfffffe00, v7
	v_ashrrev_i32_e32 v9, 31, v8
	s_waitcnt lgkmcnt(1)
	v_mul_lo_u32 v6, 0x180, v5
	v_mul_hi_i32 v5, 0x180, v5
	s_waitcnt lgkmcnt(0)
	v_add_co_u32 v3, vcc_lo, v3, v6
	v_add_co_ci_u32_e64 v4, null, v4, v5, vcc_lo
	v_add_co_u32 v3, vcc_lo, v3, v8
	v_add_co_ci_u32_e64 v4, null, v4, v9, vcc_lo
	flat_load_dwordx4 v[3:6], v[3:4] offset:96
	s_waitcnt vmcnt(0) lgkmcnt(0)
	ds_write_b128 v7, v[3:6] offset:16160
.LBB0_69:
	s_or_b32 exec_lo, exec_lo, s5
.LBB0_70:
	s_or_b32 exec_lo, exec_lo, s4
.LBB0_71:
	s_andn2_saveexec_b32 s4, s10
	s_cbranch_execz .LBB0_75
; %bb.72:
	s_mov_b32 s5, exec_lo
	v_cmpx_gt_u32_e32 6, v0
	s_cbranch_execz .LBB0_74
; %bb.73:
	v_mov_b32_e32 v3, 0
	v_lshlrev_b32_e32 v7, 4, v0
	ds_read_b64 v[3:4], v3 offset:16512
	s_waitcnt lgkmcnt(0)
	v_add_co_u32 v3, vcc_lo, v3, v7
	v_add_co_ci_u32_e64 v4, null, 0, v4, vcc_lo
	flat_load_dwordx4 v[3:6], v[3:4]
	s_waitcnt vmcnt(0) lgkmcnt(0)
	ds_write_b128 v7, v[3:6] offset:16576
.LBB0_74:
	s_or_b32 exec_lo, exec_lo, s5
.LBB0_75:
	s_or_b32 exec_lo, exec_lo, s4
	v_mov_b32_e32 v41, 0
	s_waitcnt lgkmcnt(0)
	s_barrier
	buffer_gl0_inv
	ds_read_b32 v3, v41 offset:16564
	s_waitcnt lgkmcnt(0)
	v_cmp_ne_u32_e32 vcc_lo, 0, v3
	s_cbranch_vccz .LBB0_88
.LBB0_76:
	s_and_saveexec_b32 s4, s52
	s_cbranch_execz .LBB0_87
; %bb.77:
	v_mov_b32_e32 v6, 0
	ds_read_b32 v7, v6 offset:17068
	ds_read_b64 v[2:3], v6 offset:17040
	s_waitcnt lgkmcnt(1)
	v_ashrrev_i32_e32 v5, 31, v7
	s_waitcnt lgkmcnt(0)
	v_add_co_u32 v0, vcc_lo, v2, 1
	v_add_co_ci_u32_e64 v1, null, 0, v3, vcc_lo
	v_add_co_u32 v4, vcc_lo, v2, v7
	v_add_co_ci_u32_e64 v5, null, v3, v5, vcc_lo
	v_cmp_gt_u64_e32 vcc_lo, v[0:1], v[4:5]
	s_cbranch_vccnz .LBB0_86
; %bb.78:
	ds_read_u8 v8, v6 offset:17064
	s_movk_i32 s4, 0x4f0e
	s_movk_i32 s5, 0x4eda
	s_branch .LBB0_80
.LBB0_79:                               ;   in Loop: Header=BB0_80 Depth=1
	s_waitcnt lgkmcnt(0)
	v_ashrrev_i32_e32 v5, 31, v7
	v_add_co_u32 v0, vcc_lo, v0, 1
	v_add_co_ci_u32_e64 v1, null, 0, v1, vcc_lo
	v_add_co_u32 v4, vcc_lo, v2, v7
	v_add_co_ci_u32_e64 v5, null, v3, v5, vcc_lo
	s_add_i32 s4, s4, 64
	s_addk_i32 s5, 0x80
	v_cmp_le_u64_e32 vcc_lo, v[0:1], v[4:5]
	s_cbranch_vccz .LBB0_86
.LBB0_80:                               ; =>This Inner Loop Header: Depth=1
	s_waitcnt lgkmcnt(0)
	v_cmp_ne_u32_sdwa s6, v8, v6 src0_sel:BYTE_0 src1_sel:DWORD
	s_and_b32 vcc_lo, exec_lo, s6
	s_cbranch_vccz .LBB0_85
; %bb.81:                               ;   in Loop: Header=BB0_80 Depth=1
	v_mov_b32_e32 v4, s5
	ds_read_u8 v4, v4
	s_waitcnt lgkmcnt(0)
	v_and_b32_e32 v4, 1, v4
	s_cbranch_execnz .LBB0_83
.LBB0_82:                               ;   in Loop: Header=BB0_80 Depth=1
	v_mov_b32_e32 v4, s4
	ds_read_u16 v4, v4
	s_waitcnt lgkmcnt(0)
	v_bfe_u32 v4, v4, 6, 1
.LBB0_83:                               ;   in Loop: Header=BB0_80 Depth=1
	v_cmp_eq_u32_e32 vcc_lo, 0, v4
	s_cbranch_vccnz .LBB0_79
; %bb.84:                               ;   in Loop: Header=BB0_80 Depth=1
	s_memrealtime s[6:7]
	ds_read_u8 v8, v6 offset:17064
	ds_read_b32 v2, v6 offset:16560
	ds_read_b64 v[4:5], v6 offset:16664
	v_and_b32_e32 v7, 63, v0
	v_lshlrev_b32_e32 v7, 4, v7
	s_waitcnt lgkmcnt(0)
	v_ashrrev_i32_e32 v3, 31, v2
	v_lshlrev_b64 v[9:10], 10, v[2:3]
	v_mov_b32_e32 v2, s6
	v_mov_b32_e32 v3, s7
	v_add_co_u32 v4, vcc_lo, v4, v9
	v_add_co_ci_u32_e64 v5, null, v5, v10, vcc_lo
	v_add_co_u32 v4, vcc_lo, v4, v7
	v_add_co_ci_u32_e64 v5, null, 0, v5, vcc_lo
	flat_store_dwordx4 v[4:5], v[0:3]
	ds_read_b64 v[2:3], v6 offset:17040
	ds_read_b32 v7, v6 offset:17068
	s_branch .LBB0_79
.LBB0_85:                               ;   in Loop: Header=BB0_80 Depth=1
                                        ; implicit-def: $vgpr4
	s_branch .LBB0_82
.LBB0_86:
	v_mov_b32_e32 v2, 0
	ds_read_b32 v3, v2 offset:16560
	ds_read_b64 v[0:1], v2 offset:16512
	ds_write_b64 v2, v[4:5] offset:17040
	s_waitcnt lgkmcnt(2)
	v_mul_lo_u32 v6, 0x180, v3
	v_mul_hi_i32 v3, 0x180, v3
	s_waitcnt lgkmcnt(1)
	v_add_co_u32 v0, vcc_lo, v0, v6
	v_add_co_ci_u32_e64 v1, null, v1, v3, vcc_lo
	flat_store_dwordx2 v[0:1], v[4:5] offset:464
.LBB0_87:
	s_endpgm
.LBB0_88:
	v_and_b32_e32 v44, 31, v0
	v_lshlrev_b32_e32 v2, 20, v2
	v_lshlrev_b32_e32 v1, 10, v1
	v_cmp_eq_u32_e32 vcc_lo, 1, v12
	v_cmp_gt_u32_e64 s4, 40, v0
	s_movk_i32 s5, 0x160
	v_cmp_eq_u32_e64 s53, 32, v0
	v_mad_u32_u24 v43, v0, s5, 0x17d8
	v_mul_u32_u24_e32 v45, 0x810, v12
	v_lshlrev_b32_e64 v46, v0, 1
	v_bfm_b32 v47, v44, 0
	v_or_b32_e32 v56, 32, v44
	v_or3_b32 v40, v0, v1, v2
	v_mov_b32_e32 v57, 0x58
	s_and_b32 s55, vcc_lo, s4
	s_branch .LBB0_90
.LBB0_89:                               ;   in Loop: Header=BB0_90 Depth=1
	s_waitcnt lgkmcnt(0)
	s_waitcnt_vscnt null, 0x0
	s_barrier
	buffer_gl0_inv
	ds_read_b32 v0, v41 offset:16564
	s_waitcnt lgkmcnt(0)
	v_cmp_ne_u32_e64 s4, 0, v0
	s_and_b32 vcc_lo, exec_lo, s4
	s_cbranch_vccnz .LBB0_76
.LBB0_90:                               ; =>This Loop Header: Depth=1
                                        ;     Child Loop BB0_94 Depth 2
                                        ;     Child Loop BB0_585 Depth 2
	;; [unrolled: 1-line block ×3, first 2 shown]
	s_and_saveexec_b32 s4, s52
	s_cbranch_execz .LBB0_100
; %bb.91:                               ;   in Loop: Header=BB0_90 Depth=1
	ds_read_b32 v4, v41 offset:17068
	ds_read_b64 v[2:3], v41 offset:17040
	s_waitcnt lgkmcnt(1)
	v_ashrrev_i32_e32 v6, 31, v4
	s_waitcnt lgkmcnt(0)
	v_add_co_u32 v0, vcc_lo, v2, 1
	v_add_co_ci_u32_e64 v1, null, 0, v3, vcc_lo
	v_add_co_u32 v5, vcc_lo, v2, v4
	v_add_co_ci_u32_e64 v6, null, v3, v6, vcc_lo
	v_cmp_gt_u64_e32 vcc_lo, v[0:1], v[5:6]
	s_cbranch_vccnz .LBB0_100
; %bb.92:                               ;   in Loop: Header=BB0_90 Depth=1
	ds_read_u8 v5, v41 offset:17064
	s_movk_i32 s5, 0x4f0e
	s_movk_i32 s6, 0x4eda
	s_branch .LBB0_94
.LBB0_93:                               ;   in Loop: Header=BB0_94 Depth=2
	s_waitcnt lgkmcnt(0)
	v_ashrrev_i32_e32 v7, 31, v4
	v_add_co_u32 v0, vcc_lo, v0, 1
	v_add_co_ci_u32_e64 v1, null, 0, v1, vcc_lo
	v_add_co_u32 v6, vcc_lo, v2, v4
	v_add_co_ci_u32_e64 v7, null, v3, v7, vcc_lo
	s_add_i32 s5, s5, 64
	s_addk_i32 s6, 0x80
	v_cmp_le_u64_e32 vcc_lo, v[0:1], v[6:7]
	s_cbranch_vccz .LBB0_100
.LBB0_94:                               ;   Parent Loop BB0_90 Depth=1
                                        ; =>  This Inner Loop Header: Depth=2
	s_waitcnt lgkmcnt(0)
	v_cmp_ne_u32_sdwa s7, v5, v41 src0_sel:BYTE_0 src1_sel:DWORD
	s_and_b32 vcc_lo, exec_lo, s7
	s_cbranch_vccz .LBB0_99
; %bb.95:                               ;   in Loop: Header=BB0_94 Depth=2
	v_mov_b32_e32 v6, s6
	ds_read_u8 v6, v6
	s_waitcnt lgkmcnt(0)
	v_and_b32_e32 v6, 1, v6
	s_cbranch_execnz .LBB0_97
.LBB0_96:                               ;   in Loop: Header=BB0_94 Depth=2
	v_mov_b32_e32 v6, s5
	ds_read_u16 v6, v6
	s_waitcnt lgkmcnt(0)
	v_bfe_u32 v6, v6, 6, 1
.LBB0_97:                               ;   in Loop: Header=BB0_94 Depth=2
	v_cmp_eq_u32_e32 vcc_lo, 0, v6
	s_cbranch_vccnz .LBB0_93
; %bb.98:                               ;   in Loop: Header=BB0_94 Depth=2
	s_memrealtime s[8:9]
	ds_read_u8 v5, v41 offset:17064
	ds_read_b32 v2, v41 offset:16560
	ds_read_b64 v[6:7], v41 offset:16656
	v_and_b32_e32 v8, 63, v0
	v_lshlrev_b32_e32 v8, 4, v8
	s_waitcnt lgkmcnt(0)
	v_ashrrev_i32_e32 v3, 31, v2
	v_lshlrev_b64 v[3:4], 10, v[2:3]
	v_mov_b32_e32 v2, s8
	v_add_co_u32 v6, vcc_lo, v6, v3
	v_add_co_ci_u32_e64 v4, null, v7, v4, vcc_lo
	v_mov_b32_e32 v3, s9
	v_add_co_u32 v6, vcc_lo, v6, v8
	v_add_co_ci_u32_e64 v7, null, 0, v4, vcc_lo
	flat_store_dwordx4 v[6:7], v[0:3]
	ds_read_b64 v[2:3], v41 offset:17040
	ds_read_b32 v4, v41 offset:17068
	s_branch .LBB0_93
.LBB0_99:                               ;   in Loop: Header=BB0_94 Depth=2
                                        ; implicit-def: $vgpr6
	s_branch .LBB0_96
.LBB0_100:                              ;   in Loop: Header=BB0_90 Depth=1
	s_or_b32 exec_lo, exec_lo, s4
	ds_read_u16 v0, v41 offset:17066
	s_waitcnt lgkmcnt(0)
	v_cmp_gt_u32_sdwa s4, v0, v57 src0_sel:WORD_0 src1_sel:DWORD
	v_readfirstlane_b32 s64, v0
	s_and_b32 vcc_lo, exec_lo, s4
	s_mov_b32 s4, -1
	s_cbranch_vccz .LBB0_265
; %bb.101:                              ;   in Loop: Header=BB0_90 Depth=1
	s_and_b32 s65, 0xffff, s64
	s_cmpk_gt_u32 s65, 0x85
	s_cbranch_scc0 .LBB0_180
; %bb.102:                              ;   in Loop: Header=BB0_90 Depth=1
	s_cmpk_gt_u32 s65, 0x9b
	s_cbranch_scc0 .LBB0_142
; %bb.103:                              ;   in Loop: Header=BB0_90 Depth=1
	;; [unrolled: 3-line block ×6, first 2 shown]
	v_mov_b32_e32 v31, v40
	s_add_u32 s8, s36, 0x1000
	s_addc_u32 s9, s37, 0
	s_getpc_b64 s[16:17]
	s_add_u32 s16, s16, _Z50ncclDevFunc_AlltoAllPivot_RING_SIMPLE_Sum_i8_0_0_1v@rel32@lo+4
	s_addc_u32 s17, s17, _Z50ncclDevFunc_AlltoAllPivot_RING_SIMPLE_Sum_i8_0_0_1v@rel32@hi+12
	s_mov_b64 s[4:5], s[48:49]
	s_mov_b64 s[6:7], s[38:39]
	;; [unrolled: 1-line block ×3, first 2 shown]
	s_mov_b32 s12, s51
	s_mov_b32 s13, s50
	;; [unrolled: 1-line block ×3, first 2 shown]
	s_swappc_b64 s[30:31], s[16:17]
	s_mov_b32 s4, 0
.LBB0_108:                              ;   in Loop: Header=BB0_90 Depth=1
	s_andn2_b32 vcc_lo, exec_lo, s4
	s_cbranch_vccnz .LBB0_110
; %bb.109:                              ;   in Loop: Header=BB0_90 Depth=1
	v_mov_b32_e32 v31, v40
	s_add_u32 s8, s36, 0x1000
	s_addc_u32 s9, s37, 0
	s_getpc_b64 s[16:17]
	s_add_u32 s16, s16, _Z45ncclDevFunc_SendRecv_RING_SIMPLE_Sum_i8_0_0_1v@rel32@lo+4
	s_addc_u32 s17, s17, _Z45ncclDevFunc_SendRecv_RING_SIMPLE_Sum_i8_0_0_1v@rel32@hi+12
	s_mov_b64 s[4:5], s[48:49]
	s_mov_b64 s[6:7], s[38:39]
	s_mov_b64 s[10:11], s[34:35]
	s_mov_b32 s12, s51
	s_mov_b32 s13, s50
	;; [unrolled: 1-line block ×3, first 2 shown]
	s_swappc_b64 s[30:31], s[16:17]
.LBB0_110:                              ;   in Loop: Header=BB0_90 Depth=1
	s_mov_b32 s4, 0
.LBB0_111:                              ;   in Loop: Header=BB0_90 Depth=1
	s_andn2_b32 vcc_lo, exec_lo, s4
	s_cbranch_vccnz .LBB0_116
; %bb.112:                              ;   in Loop: Header=BB0_90 Depth=1
	s_cmpk_lg_i32 s65, 0xad
	s_mov_b32 s4, -1
	s_cbranch_scc0 .LBB0_114
; %bb.113:                              ;   in Loop: Header=BB0_90 Depth=1
	v_mov_b32_e32 v31, v40
	s_add_u32 s8, s36, 0x1000
	s_addc_u32 s9, s37, 0
	s_getpc_b64 s[16:17]
	s_add_u32 s16, s16, _Z54ncclDevFunc_AllReduce_RING_SIMPLE_SumPostDiv_u64_0_0_1v@rel32@lo+4
	s_addc_u32 s17, s17, _Z54ncclDevFunc_AllReduce_RING_SIMPLE_SumPostDiv_u64_0_0_1v@rel32@hi+12
	s_mov_b64 s[4:5], s[48:49]
	s_mov_b64 s[6:7], s[38:39]
	s_mov_b64 s[10:11], s[34:35]
	s_mov_b32 s12, s51
	s_mov_b32 s13, s50
	s_mov_b32 s14, s33
	s_swappc_b64 s[30:31], s[16:17]
	s_mov_b32 s4, 0
.LBB0_114:                              ;   in Loop: Header=BB0_90 Depth=1
	s_andn2_b32 vcc_lo, exec_lo, s4
	s_cbranch_vccnz .LBB0_116
; %bb.115:                              ;   in Loop: Header=BB0_90 Depth=1
	v_mov_b32_e32 v31, v40
	s_add_u32 s8, s36, 0x1000
	s_addc_u32 s9, s37, 0
	s_getpc_b64 s[16:17]
	s_add_u32 s16, s16, _Z54ncclDevFunc_AllReduce_RING_SIMPLE_SumPostDiv_u32_0_0_1v@rel32@lo+4
	s_addc_u32 s17, s17, _Z54ncclDevFunc_AllReduce_RING_SIMPLE_SumPostDiv_u32_0_0_1v@rel32@hi+12
	s_mov_b64 s[4:5], s[48:49]
	s_mov_b64 s[6:7], s[38:39]
	;; [unrolled: 1-line block ×3, first 2 shown]
	s_mov_b32 s12, s51
	s_mov_b32 s13, s50
	;; [unrolled: 1-line block ×3, first 2 shown]
	s_swappc_b64 s[30:31], s[16:17]
.LBB0_116:                              ;   in Loop: Header=BB0_90 Depth=1
	s_mov_b32 s4, 0
.LBB0_117:                              ;   in Loop: Header=BB0_90 Depth=1
	s_andn2_b32 vcc_lo, exec_lo, s4
	s_cbranch_vccnz .LBB0_125
; %bb.118:                              ;   in Loop: Header=BB0_90 Depth=1
	s_cmpk_gt_u32 s65, 0xa9
	s_mov_b32 s4, -1
	s_cbranch_scc0 .LBB0_120
; %bb.119:                              ;   in Loop: Header=BB0_90 Depth=1
	v_mov_b32_e32 v31, v40
	s_add_u32 s8, s36, 0x1000
	s_addc_u32 s9, s37, 0
	s_getpc_b64 s[16:17]
	s_add_u32 s16, s16, _Z53ncclDevFunc_AllReduce_RING_SIMPLE_SumPostDiv_u8_0_0_1v@rel32@lo+4
	s_addc_u32 s17, s17, _Z53ncclDevFunc_AllReduce_RING_SIMPLE_SumPostDiv_u8_0_0_1v@rel32@hi+12
	s_mov_b64 s[4:5], s[48:49]
	s_mov_b64 s[6:7], s[38:39]
	;; [unrolled: 1-line block ×3, first 2 shown]
	s_mov_b32 s12, s51
	s_mov_b32 s13, s50
	;; [unrolled: 1-line block ×3, first 2 shown]
	s_swappc_b64 s[30:31], s[16:17]
	s_mov_b32 s4, 0
.LBB0_120:                              ;   in Loop: Header=BB0_90 Depth=1
	s_andn2_b32 vcc_lo, exec_lo, s4
	s_cbranch_vccnz .LBB0_125
; %bb.121:                              ;   in Loop: Header=BB0_90 Depth=1
	s_cmpk_lg_i32 s65, 0xa7
	s_mov_b32 s4, -1
	s_cbranch_scc0 .LBB0_123
; %bb.122:                              ;   in Loop: Header=BB0_90 Depth=1
	v_mov_b32_e32 v31, v40
	s_add_u32 s8, s36, 0x1000
	s_addc_u32 s9, s37, 0
	s_getpc_b64 s[16:17]
	s_add_u32 s16, s16, _Z56ncclDevFunc_AllReduce_RING_SIMPLE_PreMulSum_f8e5m2_0_0_1v@rel32@lo+4
	s_addc_u32 s17, s17, _Z56ncclDevFunc_AllReduce_RING_SIMPLE_PreMulSum_f8e5m2_0_0_1v@rel32@hi+12
	s_mov_b64 s[4:5], s[48:49]
	s_mov_b64 s[6:7], s[38:39]
	;; [unrolled: 1-line block ×3, first 2 shown]
	s_mov_b32 s12, s51
	s_mov_b32 s13, s50
	s_mov_b32 s14, s33
	s_swappc_b64 s[30:31], s[16:17]
	s_mov_b32 s4, 0
.LBB0_123:                              ;   in Loop: Header=BB0_90 Depth=1
	s_andn2_b32 vcc_lo, exec_lo, s4
	s_cbranch_vccnz .LBB0_125
; %bb.124:                              ;   in Loop: Header=BB0_90 Depth=1
	v_mov_b32_e32 v31, v40
	s_add_u32 s8, s36, 0x1000
	s_addc_u32 s9, s37, 0
	s_getpc_b64 s[16:17]
	s_add_u32 s16, s16, _Z56ncclDevFunc_AllReduce_RING_SIMPLE_PreMulSum_f8e4m3_0_0_1v@rel32@lo+4
	s_addc_u32 s17, s17, _Z56ncclDevFunc_AllReduce_RING_SIMPLE_PreMulSum_f8e4m3_0_0_1v@rel32@hi+12
	s_mov_b64 s[4:5], s[48:49]
	s_mov_b64 s[6:7], s[38:39]
	;; [unrolled: 1-line block ×3, first 2 shown]
	s_mov_b32 s12, s51
	s_mov_b32 s13, s50
	;; [unrolled: 1-line block ×3, first 2 shown]
	s_swappc_b64 s[30:31], s[16:17]
.LBB0_125:                              ;   in Loop: Header=BB0_90 Depth=1
	s_mov_b32 s4, 0
.LBB0_126:                              ;   in Loop: Header=BB0_90 Depth=1
	s_andn2_b32 vcc_lo, exec_lo, s4
	s_cbranch_vccnz .LBB0_141
; %bb.127:                              ;   in Loop: Header=BB0_90 Depth=1
	s_cmpk_gt_u32 s65, 0xa0
	s_mov_b32 s4, -1
	s_cbranch_scc0 .LBB0_136
; %bb.128:                              ;   in Loop: Header=BB0_90 Depth=1
	s_cmpk_gt_u32 s65, 0xa3
	s_cbranch_scc0 .LBB0_130
; %bb.129:                              ;   in Loop: Header=BB0_90 Depth=1
	v_mov_b32_e32 v31, v40
	s_add_u32 s8, s36, 0x1000
	s_addc_u32 s9, s37, 0
	s_getpc_b64 s[16:17]
	s_add_u32 s16, s16, _Z54ncclDevFunc_AllReduce_RING_SIMPLE_PreMulSum_bf16_0_1_1v@rel32@lo+4
	s_addc_u32 s17, s17, _Z54ncclDevFunc_AllReduce_RING_SIMPLE_PreMulSum_bf16_0_1_1v@rel32@hi+12
	s_mov_b64 s[4:5], s[48:49]
	s_mov_b64 s[6:7], s[38:39]
	;; [unrolled: 1-line block ×3, first 2 shown]
	s_mov_b32 s12, s51
	s_mov_b32 s13, s50
	;; [unrolled: 1-line block ×3, first 2 shown]
	s_swappc_b64 s[30:31], s[16:17]
	s_mov_b32 s4, 0
.LBB0_130:                              ;   in Loop: Header=BB0_90 Depth=1
	s_andn2_b32 vcc_lo, exec_lo, s4
	s_cbranch_vccnz .LBB0_135
; %bb.131:                              ;   in Loop: Header=BB0_90 Depth=1
	s_cmpk_lg_i32 s65, 0xa1
	s_mov_b32 s4, -1
	s_cbranch_scc0 .LBB0_133
; %bb.132:                              ;   in Loop: Header=BB0_90 Depth=1
	v_mov_b32_e32 v31, v40
	s_add_u32 s8, s36, 0x1000
	s_addc_u32 s9, s37, 0
	s_getpc_b64 s[16:17]
	s_add_u32 s16, s16, _Z54ncclDevFunc_AllReduce_RING_SIMPLE_PreMulSum_bf16_0_0_1v@rel32@lo+4
	s_addc_u32 s17, s17, _Z54ncclDevFunc_AllReduce_RING_SIMPLE_PreMulSum_bf16_0_0_1v@rel32@hi+12
	s_mov_b64 s[4:5], s[48:49]
	s_mov_b64 s[6:7], s[38:39]
	;; [unrolled: 1-line block ×3, first 2 shown]
	s_mov_b32 s12, s51
	s_mov_b32 s13, s50
	;; [unrolled: 1-line block ×3, first 2 shown]
	s_swappc_b64 s[30:31], s[16:17]
	s_mov_b32 s4, 0
.LBB0_133:                              ;   in Loop: Header=BB0_90 Depth=1
	s_andn2_b32 vcc_lo, exec_lo, s4
	s_cbranch_vccnz .LBB0_135
; %bb.134:                              ;   in Loop: Header=BB0_90 Depth=1
	v_mov_b32_e32 v31, v40
	s_add_u32 s8, s36, 0x1000
	s_addc_u32 s9, s37, 0
	s_getpc_b64 s[16:17]
	s_add_u32 s16, s16, _Z53ncclDevFunc_AllReduce_RING_SIMPLE_PreMulSum_f64_0_0_1v@rel32@lo+4
	s_addc_u32 s17, s17, _Z53ncclDevFunc_AllReduce_RING_SIMPLE_PreMulSum_f64_0_0_1v@rel32@hi+12
	s_mov_b64 s[4:5], s[48:49]
	s_mov_b64 s[6:7], s[38:39]
	;; [unrolled: 1-line block ×3, first 2 shown]
	s_mov_b32 s12, s51
	s_mov_b32 s13, s50
	;; [unrolled: 1-line block ×3, first 2 shown]
	s_swappc_b64 s[30:31], s[16:17]
.LBB0_135:                              ;   in Loop: Header=BB0_90 Depth=1
	s_mov_b32 s4, 0
.LBB0_136:                              ;   in Loop: Header=BB0_90 Depth=1
	s_andn2_b32 vcc_lo, exec_lo, s4
	s_cbranch_vccnz .LBB0_141
; %bb.137:                              ;   in Loop: Header=BB0_90 Depth=1
	s_cmpk_gt_u32 s65, 0x9d
	s_mov_b32 s4, -1
	s_cbranch_scc0 .LBB0_139
; %bb.138:                              ;   in Loop: Header=BB0_90 Depth=1
	v_mov_b32_e32 v31, v40
	s_add_u32 s8, s36, 0x1000
	s_addc_u32 s9, s37, 0
	s_getpc_b64 s[16:17]
	s_add_u32 s16, s16, _Z53ncclDevFunc_AllReduce_RING_SIMPLE_PreMulSum_f32_0_0_1v@rel32@lo+4
	s_addc_u32 s17, s17, _Z53ncclDevFunc_AllReduce_RING_SIMPLE_PreMulSum_f32_0_0_1v@rel32@hi+12
	s_mov_b64 s[4:5], s[48:49]
	s_mov_b64 s[6:7], s[38:39]
	;; [unrolled: 1-line block ×3, first 2 shown]
	s_mov_b32 s12, s51
	s_mov_b32 s13, s50
	;; [unrolled: 1-line block ×3, first 2 shown]
	s_swappc_b64 s[30:31], s[16:17]
	s_mov_b32 s4, 0
.LBB0_139:                              ;   in Loop: Header=BB0_90 Depth=1
	s_andn2_b32 vcc_lo, exec_lo, s4
	s_cbranch_vccnz .LBB0_141
; %bb.140:                              ;   in Loop: Header=BB0_90 Depth=1
	v_mov_b32_e32 v31, v40
	s_add_u32 s8, s36, 0x1000
	s_addc_u32 s9, s37, 0
	s_getpc_b64 s[16:17]
	s_add_u32 s16, s16, _Z53ncclDevFunc_AllReduce_RING_SIMPLE_PreMulSum_f16_0_0_1v@rel32@lo+4
	s_addc_u32 s17, s17, _Z53ncclDevFunc_AllReduce_RING_SIMPLE_PreMulSum_f16_0_0_1v@rel32@hi+12
	s_mov_b64 s[4:5], s[48:49]
	s_mov_b64 s[6:7], s[38:39]
	;; [unrolled: 1-line block ×3, first 2 shown]
	s_mov_b32 s12, s51
	s_mov_b32 s13, s50
	;; [unrolled: 1-line block ×3, first 2 shown]
	s_swappc_b64 s[30:31], s[16:17]
.LBB0_141:                              ;   in Loop: Header=BB0_90 Depth=1
	s_mov_b32 s4, 0
.LBB0_142:                              ;   in Loop: Header=BB0_90 Depth=1
	s_andn2_b32 vcc_lo, exec_lo, s4
	s_cbranch_vccnz .LBB0_179
; %bb.143:                              ;   in Loop: Header=BB0_90 Depth=1
	s_cmpk_gt_u32 s65, 0x90
	s_mov_b32 s4, -1
	s_cbranch_scc0 .LBB0_160
; %bb.144:                              ;   in Loop: Header=BB0_90 Depth=1
	s_cmpk_gt_u32 s65, 0x95
	s_cbranch_scc0 .LBB0_154
; %bb.145:                              ;   in Loop: Header=BB0_90 Depth=1
	s_cmpk_gt_u32 s65, 0x98
	s_cbranch_scc0 .LBB0_151
; %bb.146:                              ;   in Loop: Header=BB0_90 Depth=1
	s_cmpk_lg_i32 s65, 0x99
	s_cbranch_scc0 .LBB0_148
; %bb.147:                              ;   in Loop: Header=BB0_90 Depth=1
	v_mov_b32_e32 v31, v40
	s_add_u32 s8, s36, 0x1000
	s_addc_u32 s9, s37, 0
	s_getpc_b64 s[16:17]
	s_add_u32 s16, s16, _Z53ncclDevFunc_AllReduce_RING_SIMPLE_PreMulSum_u64_0_0_1v@rel32@lo+4
	s_addc_u32 s17, s17, _Z53ncclDevFunc_AllReduce_RING_SIMPLE_PreMulSum_u64_0_0_1v@rel32@hi+12
	s_mov_b64 s[4:5], s[48:49]
	s_mov_b64 s[6:7], s[38:39]
	;; [unrolled: 1-line block ×3, first 2 shown]
	s_mov_b32 s12, s51
	s_mov_b32 s13, s50
	;; [unrolled: 1-line block ×3, first 2 shown]
	s_swappc_b64 s[30:31], s[16:17]
	s_mov_b32 s4, 0
.LBB0_148:                              ;   in Loop: Header=BB0_90 Depth=1
	s_andn2_b32 vcc_lo, exec_lo, s4
	s_cbranch_vccnz .LBB0_150
; %bb.149:                              ;   in Loop: Header=BB0_90 Depth=1
	v_mov_b32_e32 v31, v40
	s_add_u32 s8, s36, 0x1000
	s_addc_u32 s9, s37, 0
	s_getpc_b64 s[16:17]
	s_add_u32 s16, s16, _Z53ncclDevFunc_AllReduce_RING_SIMPLE_PreMulSum_u32_0_0_1v@rel32@lo+4
	s_addc_u32 s17, s17, _Z53ncclDevFunc_AllReduce_RING_SIMPLE_PreMulSum_u32_0_0_1v@rel32@hi+12
	s_mov_b64 s[4:5], s[48:49]
	s_mov_b64 s[6:7], s[38:39]
	;; [unrolled: 1-line block ×3, first 2 shown]
	s_mov_b32 s12, s51
	s_mov_b32 s13, s50
	;; [unrolled: 1-line block ×3, first 2 shown]
	s_swappc_b64 s[30:31], s[16:17]
.LBB0_150:                              ;   in Loop: Header=BB0_90 Depth=1
	s_mov_b32 s4, 0
.LBB0_151:                              ;   in Loop: Header=BB0_90 Depth=1
	s_andn2_b32 vcc_lo, exec_lo, s4
	s_cbranch_vccnz .LBB0_153
; %bb.152:                              ;   in Loop: Header=BB0_90 Depth=1
	v_mov_b32_e32 v31, v40
	s_add_u32 s8, s36, 0x1000
	s_addc_u32 s9, s37, 0
	s_getpc_b64 s[16:17]
	s_add_u32 s16, s16, _Z52ncclDevFunc_AllReduce_RING_SIMPLE_PreMulSum_u8_0_0_1v@rel32@lo+4
	s_addc_u32 s17, s17, _Z52ncclDevFunc_AllReduce_RING_SIMPLE_PreMulSum_u8_0_0_1v@rel32@hi+12
	s_mov_b64 s[4:5], s[48:49]
	s_mov_b64 s[6:7], s[38:39]
	;; [unrolled: 1-line block ×3, first 2 shown]
	s_mov_b32 s12, s51
	s_mov_b32 s13, s50
	s_mov_b32 s14, s33
	s_swappc_b64 s[30:31], s[16:17]
.LBB0_153:                              ;   in Loop: Header=BB0_90 Depth=1
	s_mov_b32 s4, 0
.LBB0_154:                              ;   in Loop: Header=BB0_90 Depth=1
	s_andn2_b32 vcc_lo, exec_lo, s4
	s_cbranch_vccnz .LBB0_159
; %bb.155:                              ;   in Loop: Header=BB0_90 Depth=1
	s_cmpk_gt_u32 s65, 0x93
	s_mov_b32 s4, -1
	s_cbranch_scc0 .LBB0_157
; %bb.156:                              ;   in Loop: Header=BB0_90 Depth=1
	v_mov_b32_e32 v31, v40
	s_add_u32 s8, s36, 0x1000
	s_addc_u32 s9, s37, 0
	s_getpc_b64 s[16:17]
	s_add_u32 s16, s16, _Z53ncclDevFunc_AllReduce_RING_SIMPLE_MinMax_f8e5m2_0_0_1v@rel32@lo+4
	s_addc_u32 s17, s17, _Z53ncclDevFunc_AllReduce_RING_SIMPLE_MinMax_f8e5m2_0_0_1v@rel32@hi+12
	s_mov_b64 s[4:5], s[48:49]
	s_mov_b64 s[6:7], s[38:39]
	;; [unrolled: 1-line block ×3, first 2 shown]
	s_mov_b32 s12, s51
	s_mov_b32 s13, s50
	;; [unrolled: 1-line block ×3, first 2 shown]
	s_swappc_b64 s[30:31], s[16:17]
	s_mov_b32 s4, 0
.LBB0_157:                              ;   in Loop: Header=BB0_90 Depth=1
	s_andn2_b32 vcc_lo, exec_lo, s4
	s_cbranch_vccnz .LBB0_159
; %bb.158:                              ;   in Loop: Header=BB0_90 Depth=1
	v_mov_b32_e32 v31, v40
	s_add_u32 s8, s36, 0x1000
	s_addc_u32 s9, s37, 0
	s_getpc_b64 s[16:17]
	s_add_u32 s16, s16, _Z53ncclDevFunc_AllReduce_RING_SIMPLE_MinMax_f8e4m3_0_0_1v@rel32@lo+4
	s_addc_u32 s17, s17, _Z53ncclDevFunc_AllReduce_RING_SIMPLE_MinMax_f8e4m3_0_0_1v@rel32@hi+12
	s_mov_b64 s[4:5], s[48:49]
	s_mov_b64 s[6:7], s[38:39]
	;; [unrolled: 1-line block ×3, first 2 shown]
	s_mov_b32 s12, s51
	s_mov_b32 s13, s50
	s_mov_b32 s14, s33
	s_swappc_b64 s[30:31], s[16:17]
.LBB0_159:                              ;   in Loop: Header=BB0_90 Depth=1
	s_mov_b32 s4, 0
.LBB0_160:                              ;   in Loop: Header=BB0_90 Depth=1
	s_andn2_b32 vcc_lo, exec_lo, s4
	s_cbranch_vccnz .LBB0_179
; %bb.161:                              ;   in Loop: Header=BB0_90 Depth=1
	s_cmpk_gt_u32 s65, 0x8a
	s_mov_b32 s4, -1
	s_cbranch_scc0 .LBB0_174
; %bb.162:                              ;   in Loop: Header=BB0_90 Depth=1
	s_cmpk_gt_u32 s65, 0x8d
	s_cbranch_scc0 .LBB0_168
; %bb.163:                              ;   in Loop: Header=BB0_90 Depth=1
	s_cmpk_eq_i32 s65, 0x90
	s_cbranch_scc1 .LBB0_165
; %bb.164:                              ;   in Loop: Header=BB0_90 Depth=1
	v_mov_b32_e32 v31, v40
	s_add_u32 s8, s36, 0x1000
	s_addc_u32 s9, s37, 0
	s_getpc_b64 s[16:17]
	s_add_u32 s16, s16, _Z51ncclDevFunc_AllReduce_RING_SIMPLE_MinMax_bf16_0_0_1v@rel32@lo+4
	s_addc_u32 s17, s17, _Z51ncclDevFunc_AllReduce_RING_SIMPLE_MinMax_bf16_0_0_1v@rel32@hi+12
	s_mov_b64 s[4:5], s[48:49]
	s_mov_b64 s[6:7], s[38:39]
	;; [unrolled: 1-line block ×3, first 2 shown]
	s_mov_b32 s12, s51
	s_mov_b32 s13, s50
	;; [unrolled: 1-line block ×3, first 2 shown]
	s_swappc_b64 s[30:31], s[16:17]
	s_mov_b32 s4, 0
.LBB0_165:                              ;   in Loop: Header=BB0_90 Depth=1
	s_andn2_b32 vcc_lo, exec_lo, s4
	s_cbranch_vccnz .LBB0_167
; %bb.166:                              ;   in Loop: Header=BB0_90 Depth=1
	v_mov_b32_e32 v31, v40
	s_add_u32 s8, s36, 0x1000
	s_addc_u32 s9, s37, 0
	s_getpc_b64 s[16:17]
	s_add_u32 s16, s16, _Z51ncclDevFunc_AllReduce_RING_SIMPLE_MinMax_bf16_0_1_1v@rel32@lo+4
	s_addc_u32 s17, s17, _Z51ncclDevFunc_AllReduce_RING_SIMPLE_MinMax_bf16_0_1_1v@rel32@hi+12
	s_mov_b64 s[4:5], s[48:49]
	s_mov_b64 s[6:7], s[38:39]
	;; [unrolled: 1-line block ×3, first 2 shown]
	s_mov_b32 s12, s51
	s_mov_b32 s13, s50
	;; [unrolled: 1-line block ×3, first 2 shown]
	s_swappc_b64 s[30:31], s[16:17]
.LBB0_167:                              ;   in Loop: Header=BB0_90 Depth=1
	s_mov_b32 s4, 0
.LBB0_168:                              ;   in Loop: Header=BB0_90 Depth=1
	s_andn2_b32 vcc_lo, exec_lo, s4
	s_cbranch_vccnz .LBB0_173
; %bb.169:                              ;   in Loop: Header=BB0_90 Depth=1
	s_cmpk_lg_i32 s65, 0x8b
	s_mov_b32 s4, -1
	s_cbranch_scc0 .LBB0_171
; %bb.170:                              ;   in Loop: Header=BB0_90 Depth=1
	v_mov_b32_e32 v31, v40
	s_add_u32 s8, s36, 0x1000
	s_addc_u32 s9, s37, 0
	s_getpc_b64 s[16:17]
	s_add_u32 s16, s16, _Z50ncclDevFunc_AllReduce_RING_SIMPLE_MinMax_f64_0_0_1v@rel32@lo+4
	s_addc_u32 s17, s17, _Z50ncclDevFunc_AllReduce_RING_SIMPLE_MinMax_f64_0_0_1v@rel32@hi+12
	s_mov_b64 s[4:5], s[48:49]
	s_mov_b64 s[6:7], s[38:39]
	;; [unrolled: 1-line block ×3, first 2 shown]
	s_mov_b32 s12, s51
	s_mov_b32 s13, s50
	;; [unrolled: 1-line block ×3, first 2 shown]
	s_swappc_b64 s[30:31], s[16:17]
	s_mov_b32 s4, 0
.LBB0_171:                              ;   in Loop: Header=BB0_90 Depth=1
	s_andn2_b32 vcc_lo, exec_lo, s4
	s_cbranch_vccnz .LBB0_173
; %bb.172:                              ;   in Loop: Header=BB0_90 Depth=1
	v_mov_b32_e32 v31, v40
	s_add_u32 s8, s36, 0x1000
	s_addc_u32 s9, s37, 0
	s_getpc_b64 s[16:17]
	s_add_u32 s16, s16, _Z50ncclDevFunc_AllReduce_RING_SIMPLE_MinMax_f32_0_0_1v@rel32@lo+4
	s_addc_u32 s17, s17, _Z50ncclDevFunc_AllReduce_RING_SIMPLE_MinMax_f32_0_0_1v@rel32@hi+12
	s_mov_b64 s[4:5], s[48:49]
	s_mov_b64 s[6:7], s[38:39]
	;; [unrolled: 1-line block ×3, first 2 shown]
	s_mov_b32 s12, s51
	s_mov_b32 s13, s50
	;; [unrolled: 1-line block ×3, first 2 shown]
	s_swappc_b64 s[30:31], s[16:17]
.LBB0_173:                              ;   in Loop: Header=BB0_90 Depth=1
	s_mov_b32 s4, 0
.LBB0_174:                              ;   in Loop: Header=BB0_90 Depth=1
	s_andn2_b32 vcc_lo, exec_lo, s4
	s_cbranch_vccnz .LBB0_179
; %bb.175:                              ;   in Loop: Header=BB0_90 Depth=1
	s_cmpk_gt_u32 s65, 0x87
	s_mov_b32 s4, -1
	s_cbranch_scc0 .LBB0_177
; %bb.176:                              ;   in Loop: Header=BB0_90 Depth=1
	v_mov_b32_e32 v31, v40
	s_add_u32 s8, s36, 0x1000
	s_addc_u32 s9, s37, 0
	s_getpc_b64 s[16:17]
	s_add_u32 s16, s16, _Z50ncclDevFunc_AllReduce_RING_SIMPLE_MinMax_f16_0_0_1v@rel32@lo+4
	s_addc_u32 s17, s17, _Z50ncclDevFunc_AllReduce_RING_SIMPLE_MinMax_f16_0_0_1v@rel32@hi+12
	s_mov_b64 s[4:5], s[48:49]
	s_mov_b64 s[6:7], s[38:39]
	;; [unrolled: 1-line block ×3, first 2 shown]
	s_mov_b32 s12, s51
	s_mov_b32 s13, s50
	;; [unrolled: 1-line block ×3, first 2 shown]
	s_swappc_b64 s[30:31], s[16:17]
	s_mov_b32 s4, 0
.LBB0_177:                              ;   in Loop: Header=BB0_90 Depth=1
	s_andn2_b32 vcc_lo, exec_lo, s4
	s_cbranch_vccnz .LBB0_179
; %bb.178:                              ;   in Loop: Header=BB0_90 Depth=1
	v_mov_b32_e32 v31, v40
	s_add_u32 s8, s36, 0x1000
	s_addc_u32 s9, s37, 0
	s_getpc_b64 s[16:17]
	s_add_u32 s16, s16, _Z50ncclDevFunc_AllReduce_RING_SIMPLE_MinMax_u64_0_0_1v@rel32@lo+4
	s_addc_u32 s17, s17, _Z50ncclDevFunc_AllReduce_RING_SIMPLE_MinMax_u64_0_0_1v@rel32@hi+12
	s_mov_b64 s[4:5], s[48:49]
	s_mov_b64 s[6:7], s[38:39]
	;; [unrolled: 1-line block ×3, first 2 shown]
	s_mov_b32 s12, s51
	s_mov_b32 s13, s50
	;; [unrolled: 1-line block ×3, first 2 shown]
	s_swappc_b64 s[30:31], s[16:17]
.LBB0_179:                              ;   in Loop: Header=BB0_90 Depth=1
	s_mov_b32 s4, 0
.LBB0_180:                              ;   in Loop: Header=BB0_90 Depth=1
	s_andn2_b32 vcc_lo, exec_lo, s4
	s_cbranch_vccnz .LBB0_264
; %bb.181:                              ;   in Loop: Header=BB0_90 Depth=1
	s_cmpk_gt_u32 s65, 0x6e
	s_mov_b32 s4, -1
	s_cbranch_scc0 .LBB0_223
; %bb.182:                              ;   in Loop: Header=BB0_90 Depth=1
	s_cmpk_gt_u32 s65, 0x79
	s_cbranch_scc0 .LBB0_202
; %bb.183:                              ;   in Loop: Header=BB0_90 Depth=1
	s_cmpk_gt_u32 s65, 0x7f
	;; [unrolled: 3-line block ×3, first 2 shown]
	s_cbranch_scc0 .LBB0_190
; %bb.185:                              ;   in Loop: Header=BB0_90 Depth=1
	s_cmpk_lg_i32 s65, 0x83
	s_cbranch_scc0 .LBB0_187
; %bb.186:                              ;   in Loop: Header=BB0_90 Depth=1
	v_mov_b32_e32 v31, v40
	s_add_u32 s8, s36, 0x1000
	s_addc_u32 s9, s37, 0
	s_getpc_b64 s[16:17]
	s_add_u32 s16, s16, _Z50ncclDevFunc_AllReduce_RING_SIMPLE_MinMax_u32_0_0_1v@rel32@lo+4
	s_addc_u32 s17, s17, _Z50ncclDevFunc_AllReduce_RING_SIMPLE_MinMax_u32_0_0_1v@rel32@hi+12
	s_mov_b64 s[4:5], s[48:49]
	s_mov_b64 s[6:7], s[38:39]
	;; [unrolled: 1-line block ×3, first 2 shown]
	s_mov_b32 s12, s51
	s_mov_b32 s13, s50
	;; [unrolled: 1-line block ×3, first 2 shown]
	s_swappc_b64 s[30:31], s[16:17]
	s_mov_b32 s4, 0
.LBB0_187:                              ;   in Loop: Header=BB0_90 Depth=1
	s_andn2_b32 vcc_lo, exec_lo, s4
	s_cbranch_vccnz .LBB0_189
; %bb.188:                              ;   in Loop: Header=BB0_90 Depth=1
	v_mov_b32_e32 v31, v40
	s_add_u32 s8, s36, 0x1000
	s_addc_u32 s9, s37, 0
	s_getpc_b64 s[16:17]
	s_add_u32 s16, s16, _Z49ncclDevFunc_AllReduce_RING_SIMPLE_MinMax_u8_0_0_1v@rel32@lo+4
	s_addc_u32 s17, s17, _Z49ncclDevFunc_AllReduce_RING_SIMPLE_MinMax_u8_0_0_1v@rel32@hi+12
	s_mov_b64 s[4:5], s[48:49]
	s_mov_b64 s[6:7], s[38:39]
	s_mov_b64 s[10:11], s[34:35]
	s_mov_b32 s12, s51
	s_mov_b32 s13, s50
	s_mov_b32 s14, s33
	s_swappc_b64 s[30:31], s[16:17]
.LBB0_189:                              ;   in Loop: Header=BB0_90 Depth=1
	s_mov_b32 s4, 0
.LBB0_190:                              ;   in Loop: Header=BB0_90 Depth=1
	s_andn2_b32 vcc_lo, exec_lo, s4
	s_cbranch_vccnz .LBB0_192
; %bb.191:                              ;   in Loop: Header=BB0_90 Depth=1
	v_mov_b32_e32 v31, v40
	s_add_u32 s8, s36, 0x1000
	s_addc_u32 s9, s37, 0
	s_getpc_b64 s[16:17]
	s_add_u32 s16, s16, _Z51ncclDevFunc_AllReduce_RING_SIMPLE_Prod_f8e5m2_0_0_1v@rel32@lo+4
	s_addc_u32 s17, s17, _Z51ncclDevFunc_AllReduce_RING_SIMPLE_Prod_f8e5m2_0_0_1v@rel32@hi+12
	s_mov_b64 s[4:5], s[48:49]
	s_mov_b64 s[6:7], s[38:39]
	;; [unrolled: 1-line block ×3, first 2 shown]
	s_mov_b32 s12, s51
	s_mov_b32 s13, s50
	;; [unrolled: 1-line block ×3, first 2 shown]
	s_swappc_b64 s[30:31], s[16:17]
.LBB0_192:                              ;   in Loop: Header=BB0_90 Depth=1
	s_mov_b32 s4, 0
.LBB0_193:                              ;   in Loop: Header=BB0_90 Depth=1
	s_andn2_b32 vcc_lo, exec_lo, s4
	s_cbranch_vccnz .LBB0_201
; %bb.194:                              ;   in Loop: Header=BB0_90 Depth=1
	s_cmpk_gt_u32 s65, 0x7c
	s_mov_b32 s4, -1
	s_cbranch_scc0 .LBB0_196
; %bb.195:                              ;   in Loop: Header=BB0_90 Depth=1
	v_mov_b32_e32 v31, v40
	s_add_u32 s8, s36, 0x1000
	s_addc_u32 s9, s37, 0
	s_getpc_b64 s[16:17]
	s_add_u32 s16, s16, _Z51ncclDevFunc_AllReduce_RING_SIMPLE_Prod_f8e4m3_0_0_1v@rel32@lo+4
	s_addc_u32 s17, s17, _Z51ncclDevFunc_AllReduce_RING_SIMPLE_Prod_f8e4m3_0_0_1v@rel32@hi+12
	s_mov_b64 s[4:5], s[48:49]
	s_mov_b64 s[6:7], s[38:39]
	;; [unrolled: 1-line block ×3, first 2 shown]
	s_mov_b32 s12, s51
	s_mov_b32 s13, s50
	;; [unrolled: 1-line block ×3, first 2 shown]
	s_swappc_b64 s[30:31], s[16:17]
	s_mov_b32 s4, 0
.LBB0_196:                              ;   in Loop: Header=BB0_90 Depth=1
	s_andn2_b32 vcc_lo, exec_lo, s4
	s_cbranch_vccnz .LBB0_201
; %bb.197:                              ;   in Loop: Header=BB0_90 Depth=1
	s_cmpk_eq_i32 s65, 0x7c
	s_mov_b32 s4, -1
	s_cbranch_scc1 .LBB0_199
; %bb.198:                              ;   in Loop: Header=BB0_90 Depth=1
	v_mov_b32_e32 v31, v40
	s_add_u32 s8, s36, 0x1000
	s_addc_u32 s9, s37, 0
	s_getpc_b64 s[16:17]
	s_add_u32 s16, s16, _Z49ncclDevFunc_AllReduce_RING_SIMPLE_Prod_bf16_0_0_1v@rel32@lo+4
	s_addc_u32 s17, s17, _Z49ncclDevFunc_AllReduce_RING_SIMPLE_Prod_bf16_0_0_1v@rel32@hi+12
	s_mov_b64 s[4:5], s[48:49]
	s_mov_b64 s[6:7], s[38:39]
	;; [unrolled: 1-line block ×3, first 2 shown]
	s_mov_b32 s12, s51
	s_mov_b32 s13, s50
	;; [unrolled: 1-line block ×3, first 2 shown]
	s_swappc_b64 s[30:31], s[16:17]
	s_mov_b32 s4, 0
.LBB0_199:                              ;   in Loop: Header=BB0_90 Depth=1
	s_andn2_b32 vcc_lo, exec_lo, s4
	s_cbranch_vccnz .LBB0_201
; %bb.200:                              ;   in Loop: Header=BB0_90 Depth=1
	v_mov_b32_e32 v31, v40
	s_add_u32 s8, s36, 0x1000
	s_addc_u32 s9, s37, 0
	s_getpc_b64 s[16:17]
	s_add_u32 s16, s16, _Z49ncclDevFunc_AllReduce_RING_SIMPLE_Prod_bf16_0_1_1v@rel32@lo+4
	s_addc_u32 s17, s17, _Z49ncclDevFunc_AllReduce_RING_SIMPLE_Prod_bf16_0_1_1v@rel32@hi+12
	s_mov_b64 s[4:5], s[48:49]
	s_mov_b64 s[6:7], s[38:39]
	;; [unrolled: 1-line block ×3, first 2 shown]
	s_mov_b32 s12, s51
	s_mov_b32 s13, s50
	;; [unrolled: 1-line block ×3, first 2 shown]
	s_swappc_b64 s[30:31], s[16:17]
.LBB0_201:                              ;   in Loop: Header=BB0_90 Depth=1
	s_mov_b32 s4, 0
.LBB0_202:                              ;   in Loop: Header=BB0_90 Depth=1
	s_andn2_b32 vcc_lo, exec_lo, s4
	s_cbranch_vccnz .LBB0_222
; %bb.203:                              ;   in Loop: Header=BB0_90 Depth=1
	s_cmpk_gt_u32 s65, 0x73
	s_mov_b32 s4, -1
	s_cbranch_scc0 .LBB0_213
; %bb.204:                              ;   in Loop: Header=BB0_90 Depth=1
	s_cmpk_gt_u32 s65, 0x76
	s_cbranch_scc0 .LBB0_210
; %bb.205:                              ;   in Loop: Header=BB0_90 Depth=1
	s_cmpk_lg_i32 s65, 0x77
	s_cbranch_scc0 .LBB0_207
; %bb.206:                              ;   in Loop: Header=BB0_90 Depth=1
	v_mov_b32_e32 v31, v40
	s_add_u32 s8, s36, 0x1000
	s_addc_u32 s9, s37, 0
	s_getpc_b64 s[16:17]
	s_add_u32 s16, s16, _Z48ncclDevFunc_AllReduce_RING_SIMPLE_Prod_f64_0_0_1v@rel32@lo+4
	s_addc_u32 s17, s17, _Z48ncclDevFunc_AllReduce_RING_SIMPLE_Prod_f64_0_0_1v@rel32@hi+12
	s_mov_b64 s[4:5], s[48:49]
	s_mov_b64 s[6:7], s[38:39]
	;; [unrolled: 1-line block ×3, first 2 shown]
	s_mov_b32 s12, s51
	s_mov_b32 s13, s50
	;; [unrolled: 1-line block ×3, first 2 shown]
	s_swappc_b64 s[30:31], s[16:17]
	s_mov_b32 s4, 0
.LBB0_207:                              ;   in Loop: Header=BB0_90 Depth=1
	s_andn2_b32 vcc_lo, exec_lo, s4
	s_cbranch_vccnz .LBB0_209
; %bb.208:                              ;   in Loop: Header=BB0_90 Depth=1
	v_mov_b32_e32 v31, v40
	s_add_u32 s8, s36, 0x1000
	s_addc_u32 s9, s37, 0
	s_getpc_b64 s[16:17]
	s_add_u32 s16, s16, _Z48ncclDevFunc_AllReduce_RING_SIMPLE_Prod_f32_0_0_1v@rel32@lo+4
	s_addc_u32 s17, s17, _Z48ncclDevFunc_AllReduce_RING_SIMPLE_Prod_f32_0_0_1v@rel32@hi+12
	s_mov_b64 s[4:5], s[48:49]
	s_mov_b64 s[6:7], s[38:39]
	;; [unrolled: 1-line block ×3, first 2 shown]
	s_mov_b32 s12, s51
	s_mov_b32 s13, s50
	;; [unrolled: 1-line block ×3, first 2 shown]
	s_swappc_b64 s[30:31], s[16:17]
.LBB0_209:                              ;   in Loop: Header=BB0_90 Depth=1
	s_mov_b32 s4, 0
.LBB0_210:                              ;   in Loop: Header=BB0_90 Depth=1
	s_andn2_b32 vcc_lo, exec_lo, s4
	s_cbranch_vccnz .LBB0_212
; %bb.211:                              ;   in Loop: Header=BB0_90 Depth=1
	v_mov_b32_e32 v31, v40
	s_add_u32 s8, s36, 0x1000
	s_addc_u32 s9, s37, 0
	s_getpc_b64 s[16:17]
	s_add_u32 s16, s16, _Z48ncclDevFunc_AllReduce_RING_SIMPLE_Prod_f16_0_0_1v@rel32@lo+4
	s_addc_u32 s17, s17, _Z48ncclDevFunc_AllReduce_RING_SIMPLE_Prod_f16_0_0_1v@rel32@hi+12
	s_mov_b64 s[4:5], s[48:49]
	s_mov_b64 s[6:7], s[38:39]
	;; [unrolled: 1-line block ×3, first 2 shown]
	s_mov_b32 s12, s51
	s_mov_b32 s13, s50
	;; [unrolled: 1-line block ×3, first 2 shown]
	s_swappc_b64 s[30:31], s[16:17]
.LBB0_212:                              ;   in Loop: Header=BB0_90 Depth=1
	s_mov_b32 s4, 0
.LBB0_213:                              ;   in Loop: Header=BB0_90 Depth=1
	s_andn2_b32 vcc_lo, exec_lo, s4
	s_cbranch_vccnz .LBB0_222
; %bb.214:                              ;   in Loop: Header=BB0_90 Depth=1
	s_cmpk_gt_u32 s65, 0x70
	s_mov_b32 s4, -1
	s_cbranch_scc0 .LBB0_220
; %bb.215:                              ;   in Loop: Header=BB0_90 Depth=1
	s_cmpk_lg_i32 s65, 0x71
	s_cbranch_scc0 .LBB0_217
; %bb.216:                              ;   in Loop: Header=BB0_90 Depth=1
	v_mov_b32_e32 v31, v40
	s_add_u32 s8, s36, 0x1000
	s_addc_u32 s9, s37, 0
	s_getpc_b64 s[16:17]
	s_add_u32 s16, s16, _Z48ncclDevFunc_AllReduce_RING_SIMPLE_Prod_u64_0_0_1v@rel32@lo+4
	s_addc_u32 s17, s17, _Z48ncclDevFunc_AllReduce_RING_SIMPLE_Prod_u64_0_0_1v@rel32@hi+12
	s_mov_b64 s[4:5], s[48:49]
	s_mov_b64 s[6:7], s[38:39]
	;; [unrolled: 1-line block ×3, first 2 shown]
	s_mov_b32 s12, s51
	s_mov_b32 s13, s50
	;; [unrolled: 1-line block ×3, first 2 shown]
	s_swappc_b64 s[30:31], s[16:17]
	s_mov_b32 s4, 0
.LBB0_217:                              ;   in Loop: Header=BB0_90 Depth=1
	s_andn2_b32 vcc_lo, exec_lo, s4
	s_cbranch_vccnz .LBB0_219
; %bb.218:                              ;   in Loop: Header=BB0_90 Depth=1
	v_mov_b32_e32 v31, v40
	s_add_u32 s8, s36, 0x1000
	s_addc_u32 s9, s37, 0
	s_getpc_b64 s[16:17]
	s_add_u32 s16, s16, _Z48ncclDevFunc_AllReduce_RING_SIMPLE_Prod_u32_0_0_1v@rel32@lo+4
	s_addc_u32 s17, s17, _Z48ncclDevFunc_AllReduce_RING_SIMPLE_Prod_u32_0_0_1v@rel32@hi+12
	s_mov_b64 s[4:5], s[48:49]
	s_mov_b64 s[6:7], s[38:39]
	;; [unrolled: 1-line block ×3, first 2 shown]
	s_mov_b32 s12, s51
	s_mov_b32 s13, s50
	s_mov_b32 s14, s33
	s_swappc_b64 s[30:31], s[16:17]
.LBB0_219:                              ;   in Loop: Header=BB0_90 Depth=1
	s_mov_b32 s4, 0
.LBB0_220:                              ;   in Loop: Header=BB0_90 Depth=1
	s_andn2_b32 vcc_lo, exec_lo, s4
	s_cbranch_vccnz .LBB0_222
; %bb.221:                              ;   in Loop: Header=BB0_90 Depth=1
	v_mov_b32_e32 v31, v40
	s_add_u32 s8, s36, 0x1000
	s_addc_u32 s9, s37, 0
	s_getpc_b64 s[16:17]
	s_add_u32 s16, s16, _Z47ncclDevFunc_AllReduce_RING_SIMPLE_Prod_u8_0_0_1v@rel32@lo+4
	s_addc_u32 s17, s17, _Z47ncclDevFunc_AllReduce_RING_SIMPLE_Prod_u8_0_0_1v@rel32@hi+12
	s_mov_b64 s[4:5], s[48:49]
	s_mov_b64 s[6:7], s[38:39]
	;; [unrolled: 1-line block ×3, first 2 shown]
	s_mov_b32 s12, s51
	s_mov_b32 s13, s50
	;; [unrolled: 1-line block ×3, first 2 shown]
	s_swappc_b64 s[30:31], s[16:17]
.LBB0_222:                              ;   in Loop: Header=BB0_90 Depth=1
	s_mov_b32 s4, 0
.LBB0_223:                              ;   in Loop: Header=BB0_90 Depth=1
	s_andn2_b32 vcc_lo, exec_lo, s4
	s_cbranch_vccnz .LBB0_264
; %bb.224:                              ;   in Loop: Header=BB0_90 Depth=1
	s_cmpk_gt_u32 s65, 0x63
	s_mov_b32 s4, -1
	s_cbranch_scc0 .LBB0_241
; %bb.225:                              ;   in Loop: Header=BB0_90 Depth=1
	s_cmpk_gt_u32 s65, 0x68
	s_cbranch_scc0 .LBB0_231
; %bb.226:                              ;   in Loop: Header=BB0_90 Depth=1
	s_cmpk_gt_u32 s65, 0x6b
	s_cbranch_scc0 .LBB0_228
; %bb.227:                              ;   in Loop: Header=BB0_90 Depth=1
	v_mov_b32_e32 v31, v40
	s_add_u32 s8, s36, 0x1000
	s_addc_u32 s9, s37, 0
	s_getpc_b64 s[16:17]
	s_add_u32 s16, s16, _Z50ncclDevFunc_AllReduce_RING_SIMPLE_Sum_f8e5m2_0_0_1v@rel32@lo+4
	s_addc_u32 s17, s17, _Z50ncclDevFunc_AllReduce_RING_SIMPLE_Sum_f8e5m2_0_0_1v@rel32@hi+12
	s_mov_b64 s[4:5], s[48:49]
	s_mov_b64 s[6:7], s[38:39]
	;; [unrolled: 1-line block ×3, first 2 shown]
	s_mov_b32 s12, s51
	s_mov_b32 s13, s50
	;; [unrolled: 1-line block ×3, first 2 shown]
	s_swappc_b64 s[30:31], s[16:17]
	s_mov_b32 s4, 0
.LBB0_228:                              ;   in Loop: Header=BB0_90 Depth=1
	s_andn2_b32 vcc_lo, exec_lo, s4
	s_cbranch_vccnz .LBB0_230
; %bb.229:                              ;   in Loop: Header=BB0_90 Depth=1
	v_mov_b32_e32 v31, v40
	s_add_u32 s8, s36, 0x1000
	s_addc_u32 s9, s37, 0
	s_getpc_b64 s[16:17]
	s_add_u32 s16, s16, _Z50ncclDevFunc_AllReduce_RING_SIMPLE_Sum_f8e4m3_0_0_1v@rel32@lo+4
	s_addc_u32 s17, s17, _Z50ncclDevFunc_AllReduce_RING_SIMPLE_Sum_f8e4m3_0_0_1v@rel32@hi+12
	s_mov_b64 s[4:5], s[48:49]
	s_mov_b64 s[6:7], s[38:39]
	;; [unrolled: 1-line block ×3, first 2 shown]
	s_mov_b32 s12, s51
	s_mov_b32 s13, s50
	;; [unrolled: 1-line block ×3, first 2 shown]
	s_swappc_b64 s[30:31], s[16:17]
.LBB0_230:                              ;   in Loop: Header=BB0_90 Depth=1
	s_mov_b32 s4, 0
.LBB0_231:                              ;   in Loop: Header=BB0_90 Depth=1
	s_andn2_b32 vcc_lo, exec_lo, s4
	s_cbranch_vccnz .LBB0_240
; %bb.232:                              ;   in Loop: Header=BB0_90 Depth=1
	s_cmpk_gt_u32 s65, 0x65
	s_mov_b32 s4, -1
	s_cbranch_scc0 .LBB0_238
; %bb.233:                              ;   in Loop: Header=BB0_90 Depth=1
	s_cmpk_eq_i32 s65, 0x68
	s_cbranch_scc1 .LBB0_235
; %bb.234:                              ;   in Loop: Header=BB0_90 Depth=1
	v_mov_b32_e32 v31, v40
	s_add_u32 s8, s36, 0x1000
	s_addc_u32 s9, s37, 0
	s_getpc_b64 s[16:17]
	s_add_u32 s16, s16, _Z48ncclDevFunc_AllReduce_RING_SIMPLE_Sum_bf16_0_0_1v@rel32@lo+4
	s_addc_u32 s17, s17, _Z48ncclDevFunc_AllReduce_RING_SIMPLE_Sum_bf16_0_0_1v@rel32@hi+12
	s_mov_b64 s[4:5], s[48:49]
	s_mov_b64 s[6:7], s[38:39]
	;; [unrolled: 1-line block ×3, first 2 shown]
	s_mov_b32 s12, s51
	s_mov_b32 s13, s50
	;; [unrolled: 1-line block ×3, first 2 shown]
	s_swappc_b64 s[30:31], s[16:17]
	s_mov_b32 s4, 0
.LBB0_235:                              ;   in Loop: Header=BB0_90 Depth=1
	s_andn2_b32 vcc_lo, exec_lo, s4
	s_cbranch_vccnz .LBB0_237
; %bb.236:                              ;   in Loop: Header=BB0_90 Depth=1
	v_mov_b32_e32 v31, v40
	s_add_u32 s8, s36, 0x1000
	s_addc_u32 s9, s37, 0
	s_getpc_b64 s[16:17]
	s_add_u32 s16, s16, _Z48ncclDevFunc_AllReduce_RING_SIMPLE_Sum_bf16_0_1_1v@rel32@lo+4
	s_addc_u32 s17, s17, _Z48ncclDevFunc_AllReduce_RING_SIMPLE_Sum_bf16_0_1_1v@rel32@hi+12
	s_mov_b64 s[4:5], s[48:49]
	s_mov_b64 s[6:7], s[38:39]
	;; [unrolled: 1-line block ×3, first 2 shown]
	s_mov_b32 s12, s51
	s_mov_b32 s13, s50
	;; [unrolled: 1-line block ×3, first 2 shown]
	s_swappc_b64 s[30:31], s[16:17]
.LBB0_237:                              ;   in Loop: Header=BB0_90 Depth=1
	s_mov_b32 s4, 0
.LBB0_238:                              ;   in Loop: Header=BB0_90 Depth=1
	s_andn2_b32 vcc_lo, exec_lo, s4
	s_cbranch_vccnz .LBB0_240
; %bb.239:                              ;   in Loop: Header=BB0_90 Depth=1
	v_mov_b32_e32 v31, v40
	s_add_u32 s8, s36, 0x1000
	s_addc_u32 s9, s37, 0
	s_getpc_b64 s[16:17]
	s_add_u32 s16, s16, _Z47ncclDevFunc_AllReduce_RING_SIMPLE_Sum_f64_0_0_1v@rel32@lo+4
	s_addc_u32 s17, s17, _Z47ncclDevFunc_AllReduce_RING_SIMPLE_Sum_f64_0_0_1v@rel32@hi+12
	s_mov_b64 s[4:5], s[48:49]
	s_mov_b64 s[6:7], s[38:39]
	s_mov_b64 s[10:11], s[34:35]
	s_mov_b32 s12, s51
	s_mov_b32 s13, s50
	;; [unrolled: 1-line block ×3, first 2 shown]
	s_swappc_b64 s[30:31], s[16:17]
.LBB0_240:                              ;   in Loop: Header=BB0_90 Depth=1
	s_mov_b32 s4, 0
.LBB0_241:                              ;   in Loop: Header=BB0_90 Depth=1
	s_andn2_b32 vcc_lo, exec_lo, s4
	s_cbranch_vccnz .LBB0_264
; %bb.242:                              ;   in Loop: Header=BB0_90 Depth=1
	s_cmpk_gt_u32 s65, 0x5d
	s_mov_b32 s4, -1
	s_cbranch_scc0 .LBB0_252
; %bb.243:                              ;   in Loop: Header=BB0_90 Depth=1
	s_cmpk_gt_u32 s65, 0x60
	s_cbranch_scc0 .LBB0_249
; %bb.244:                              ;   in Loop: Header=BB0_90 Depth=1
	s_cmpk_lg_i32 s65, 0x61
	s_cbranch_scc0 .LBB0_246
; %bb.245:                              ;   in Loop: Header=BB0_90 Depth=1
	v_mov_b32_e32 v31, v40
	s_add_u32 s8, s36, 0x1000
	s_addc_u32 s9, s37, 0
	s_getpc_b64 s[16:17]
	s_add_u32 s16, s16, _Z47ncclDevFunc_AllReduce_RING_SIMPLE_Sum_f32_0_0_1v@rel32@lo+4
	s_addc_u32 s17, s17, _Z47ncclDevFunc_AllReduce_RING_SIMPLE_Sum_f32_0_0_1v@rel32@hi+12
	s_mov_b64 s[4:5], s[48:49]
	s_mov_b64 s[6:7], s[38:39]
	;; [unrolled: 1-line block ×3, first 2 shown]
	s_mov_b32 s12, s51
	s_mov_b32 s13, s50
	;; [unrolled: 1-line block ×3, first 2 shown]
	s_swappc_b64 s[30:31], s[16:17]
	s_mov_b32 s4, 0
.LBB0_246:                              ;   in Loop: Header=BB0_90 Depth=1
	s_andn2_b32 vcc_lo, exec_lo, s4
	s_cbranch_vccnz .LBB0_248
; %bb.247:                              ;   in Loop: Header=BB0_90 Depth=1
	v_mov_b32_e32 v31, v40
	s_add_u32 s8, s36, 0x1000
	s_addc_u32 s9, s37, 0
	s_getpc_b64 s[16:17]
	s_add_u32 s16, s16, _Z47ncclDevFunc_AllReduce_RING_SIMPLE_Sum_f16_0_0_1v@rel32@lo+4
	s_addc_u32 s17, s17, _Z47ncclDevFunc_AllReduce_RING_SIMPLE_Sum_f16_0_0_1v@rel32@hi+12
	s_mov_b64 s[4:5], s[48:49]
	s_mov_b64 s[6:7], s[38:39]
	;; [unrolled: 1-line block ×3, first 2 shown]
	s_mov_b32 s12, s51
	s_mov_b32 s13, s50
	;; [unrolled: 1-line block ×3, first 2 shown]
	s_swappc_b64 s[30:31], s[16:17]
.LBB0_248:                              ;   in Loop: Header=BB0_90 Depth=1
	s_mov_b32 s4, 0
.LBB0_249:                              ;   in Loop: Header=BB0_90 Depth=1
	s_andn2_b32 vcc_lo, exec_lo, s4
	s_cbranch_vccnz .LBB0_251
; %bb.250:                              ;   in Loop: Header=BB0_90 Depth=1
	v_mov_b32_e32 v31, v40
	s_add_u32 s8, s36, 0x1000
	s_addc_u32 s9, s37, 0
	s_getpc_b64 s[16:17]
	s_add_u32 s16, s16, _Z47ncclDevFunc_AllReduce_RING_SIMPLE_Sum_u64_0_0_1v@rel32@lo+4
	s_addc_u32 s17, s17, _Z47ncclDevFunc_AllReduce_RING_SIMPLE_Sum_u64_0_0_1v@rel32@hi+12
	s_mov_b64 s[4:5], s[48:49]
	s_mov_b64 s[6:7], s[38:39]
	s_mov_b64 s[10:11], s[34:35]
	s_mov_b32 s12, s51
	s_mov_b32 s13, s50
	;; [unrolled: 1-line block ×3, first 2 shown]
	s_swappc_b64 s[30:31], s[16:17]
.LBB0_251:                              ;   in Loop: Header=BB0_90 Depth=1
	s_mov_b32 s4, 0
.LBB0_252:                              ;   in Loop: Header=BB0_90 Depth=1
	s_andn2_b32 vcc_lo, exec_lo, s4
	s_cbranch_vccnz .LBB0_264
; %bb.253:                              ;   in Loop: Header=BB0_90 Depth=1
	s_cmpk_gt_u32 s65, 0x5a
	s_mov_b32 s4, -1
	s_cbranch_scc0 .LBB0_259
; %bb.254:                              ;   in Loop: Header=BB0_90 Depth=1
	s_cmpk_lg_i32 s65, 0x5b
	s_cbranch_scc0 .LBB0_256
; %bb.255:                              ;   in Loop: Header=BB0_90 Depth=1
	v_mov_b32_e32 v31, v40
	s_add_u32 s8, s36, 0x1000
	s_addc_u32 s9, s37, 0
	s_getpc_b64 s[16:17]
	s_add_u32 s16, s16, _Z47ncclDevFunc_AllReduce_RING_SIMPLE_Sum_u32_0_0_1v@rel32@lo+4
	s_addc_u32 s17, s17, _Z47ncclDevFunc_AllReduce_RING_SIMPLE_Sum_u32_0_0_1v@rel32@hi+12
	s_mov_b64 s[4:5], s[48:49]
	s_mov_b64 s[6:7], s[38:39]
	;; [unrolled: 1-line block ×3, first 2 shown]
	s_mov_b32 s12, s51
	s_mov_b32 s13, s50
	;; [unrolled: 1-line block ×3, first 2 shown]
	s_swappc_b64 s[30:31], s[16:17]
	s_mov_b32 s4, 0
.LBB0_256:                              ;   in Loop: Header=BB0_90 Depth=1
	s_andn2_b32 vcc_lo, exec_lo, s4
	s_cbranch_vccnz .LBB0_258
; %bb.257:                              ;   in Loop: Header=BB0_90 Depth=1
	v_mov_b32_e32 v31, v40
	s_add_u32 s8, s36, 0x1000
	s_addc_u32 s9, s37, 0
	s_getpc_b64 s[16:17]
	s_add_u32 s16, s16, _Z46ncclDevFunc_AllReduce_RING_SIMPLE_Sum_u8_0_0_1v@rel32@lo+4
	s_addc_u32 s17, s17, _Z46ncclDevFunc_AllReduce_RING_SIMPLE_Sum_u8_0_0_1v@rel32@hi+12
	s_mov_b64 s[4:5], s[48:49]
	s_mov_b64 s[6:7], s[38:39]
	s_mov_b64 s[10:11], s[34:35]
	s_mov_b32 s12, s51
	s_mov_b32 s13, s50
	;; [unrolled: 1-line block ×3, first 2 shown]
	s_swappc_b64 s[30:31], s[16:17]
.LBB0_258:                              ;   in Loop: Header=BB0_90 Depth=1
	s_mov_b32 s4, 0
.LBB0_259:                              ;   in Loop: Header=BB0_90 Depth=1
	s_andn2_b32 vcc_lo, exec_lo, s4
	s_cbranch_vccnz .LBB0_264
; %bb.260:                              ;   in Loop: Header=BB0_90 Depth=1
	s_cmpk_eq_i32 s65, 0x5a
	s_mov_b32 s4, -1
	s_cbranch_scc1 .LBB0_262
; %bb.261:                              ;   in Loop: Header=BB0_90 Depth=1
	v_mov_b32_e32 v31, v40
	s_add_u32 s8, s36, 0x1000
	s_addc_u32 s9, s37, 0
	s_getpc_b64 s[16:17]
	s_add_u32 s16, s16, _Z54ncclDevFunc_ReduceScatter_RING_LL_SumPostDiv_u32_0_0_1v@rel32@lo+4
	s_addc_u32 s17, s17, _Z54ncclDevFunc_ReduceScatter_RING_LL_SumPostDiv_u32_0_0_1v@rel32@hi+12
	s_mov_b64 s[4:5], s[48:49]
	s_mov_b64 s[6:7], s[38:39]
	s_mov_b64 s[10:11], s[34:35]
	s_mov_b32 s12, s51
	s_mov_b32 s13, s50
	;; [unrolled: 1-line block ×3, first 2 shown]
	s_swappc_b64 s[30:31], s[16:17]
	s_mov_b32 s4, 0
.LBB0_262:                              ;   in Loop: Header=BB0_90 Depth=1
	s_andn2_b32 vcc_lo, exec_lo, s4
	s_cbranch_vccnz .LBB0_264
; %bb.263:                              ;   in Loop: Header=BB0_90 Depth=1
	v_mov_b32_e32 v31, v40
	s_add_u32 s8, s36, 0x1000
	s_addc_u32 s9, s37, 0
	s_getpc_b64 s[16:17]
	s_add_u32 s16, s16, _Z54ncclDevFunc_ReduceScatter_RING_LL_SumPostDiv_u64_0_0_1v@rel32@lo+4
	s_addc_u32 s17, s17, _Z54ncclDevFunc_ReduceScatter_RING_LL_SumPostDiv_u64_0_0_1v@rel32@hi+12
	s_mov_b64 s[4:5], s[48:49]
	s_mov_b64 s[6:7], s[38:39]
	;; [unrolled: 1-line block ×3, first 2 shown]
	s_mov_b32 s12, s51
	s_mov_b32 s13, s50
	;; [unrolled: 1-line block ×3, first 2 shown]
	s_swappc_b64 s[30:31], s[16:17]
.LBB0_264:                              ;   in Loop: Header=BB0_90 Depth=1
	s_mov_b32 s4, 0
.LBB0_265:                              ;   in Loop: Header=BB0_90 Depth=1
	s_andn2_b32 vcc_lo, exec_lo, s4
	s_cbranch_vccnz .LBB0_576
; %bb.266:                              ;   in Loop: Header=BB0_90 Depth=1
	s_and_b32 s65, 0xffff, s64
	s_mov_b32 s4, -1
	s_cmp_gt_u32 s65, 43
	s_cbranch_scc0 .LBB0_421
; %bb.267:                              ;   in Loop: Header=BB0_90 Depth=1
	s_cmpk_gt_u32 s65, 0x41
	s_cbranch_scc0 .LBB0_350
; %bb.268:                              ;   in Loop: Header=BB0_90 Depth=1
	s_cmpk_gt_u32 s65, 0x4c
	;; [unrolled: 3-line block ×4, first 2 shown]
	s_cbranch_scc0 .LBB0_280
; %bb.271:                              ;   in Loop: Header=BB0_90 Depth=1
	s_sext_i32_i16 s4, s64
	s_cmpk_lt_i32 s4, 0x57
	s_mov_b32 s4, -1
	s_cbranch_scc1 .LBB0_277
; %bb.272:                              ;   in Loop: Header=BB0_90 Depth=1
	s_cmpk_lg_i32 s65, 0x57
	s_cbranch_scc0 .LBB0_274
; %bb.273:                              ;   in Loop: Header=BB0_90 Depth=1
	v_mov_b32_e32 v31, v40
	s_add_u32 s8, s36, 0x1000
	s_addc_u32 s9, s37, 0
	s_getpc_b64 s[16:17]
	s_add_u32 s16, s16, _Z53ncclDevFunc_ReduceScatter_RING_LL_SumPostDiv_u8_0_0_1v@rel32@lo+4
	s_addc_u32 s17, s17, _Z53ncclDevFunc_ReduceScatter_RING_LL_SumPostDiv_u8_0_0_1v@rel32@hi+12
	s_mov_b64 s[4:5], s[48:49]
	s_mov_b64 s[6:7], s[38:39]
	;; [unrolled: 1-line block ×3, first 2 shown]
	s_mov_b32 s12, s51
	s_mov_b32 s13, s50
	;; [unrolled: 1-line block ×3, first 2 shown]
	s_swappc_b64 s[30:31], s[16:17]
	s_mov_b32 s4, 0
.LBB0_274:                              ;   in Loop: Header=BB0_90 Depth=1
	s_andn2_b32 vcc_lo, exec_lo, s4
	s_cbranch_vccnz .LBB0_276
; %bb.275:                              ;   in Loop: Header=BB0_90 Depth=1
	v_mov_b32_e32 v31, v40
	s_add_u32 s8, s36, 0x1000
	s_addc_u32 s9, s37, 0
	s_getpc_b64 s[16:17]
	s_add_u32 s16, s16, _Z56ncclDevFunc_ReduceScatter_RING_LL_PreMulSum_f8e5m2_0_0_1v@rel32@lo+4
	s_addc_u32 s17, s17, _Z56ncclDevFunc_ReduceScatter_RING_LL_PreMulSum_f8e5m2_0_0_1v@rel32@hi+12
	s_mov_b64 s[4:5], s[48:49]
	s_mov_b64 s[6:7], s[38:39]
	;; [unrolled: 1-line block ×3, first 2 shown]
	s_mov_b32 s12, s51
	s_mov_b32 s13, s50
	;; [unrolled: 1-line block ×3, first 2 shown]
	s_swappc_b64 s[30:31], s[16:17]
.LBB0_276:                              ;   in Loop: Header=BB0_90 Depth=1
	s_mov_b32 s4, 0
.LBB0_277:                              ;   in Loop: Header=BB0_90 Depth=1
	s_andn2_b32 vcc_lo, exec_lo, s4
	s_cbranch_vccnz .LBB0_279
; %bb.278:                              ;   in Loop: Header=BB0_90 Depth=1
	v_mov_b32_e32 v31, v40
	s_add_u32 s8, s36, 0x1000
	s_addc_u32 s9, s37, 0
	s_getpc_b64 s[16:17]
	s_add_u32 s16, s16, _Z56ncclDevFunc_ReduceScatter_RING_LL_PreMulSum_f8e4m3_0_0_1v@rel32@lo+4
	s_addc_u32 s17, s17, _Z56ncclDevFunc_ReduceScatter_RING_LL_PreMulSum_f8e4m3_0_0_1v@rel32@hi+12
	s_mov_b64 s[4:5], s[48:49]
	s_mov_b64 s[6:7], s[38:39]
	;; [unrolled: 1-line block ×3, first 2 shown]
	s_mov_b32 s12, s51
	s_mov_b32 s13, s50
	;; [unrolled: 1-line block ×3, first 2 shown]
	s_swappc_b64 s[30:31], s[16:17]
.LBB0_279:                              ;   in Loop: Header=BB0_90 Depth=1
	s_mov_b32 s4, 0
.LBB0_280:                              ;   in Loop: Header=BB0_90 Depth=1
	s_and_b32 vcc_lo, exec_lo, s4
	s_cbranch_vccz .LBB0_289
; %bb.281:                              ;   in Loop: Header=BB0_90 Depth=1
	s_sext_i32_i16 s4, s64
	s_cmpk_lt_i32 s4, 0x54
	s_mov_b32 s4, -1
	s_cbranch_scc1 .LBB0_287
; %bb.282:                              ;   in Loop: Header=BB0_90 Depth=1
	s_cmpk_lg_i32 s65, 0x54
	s_cbranch_scc0 .LBB0_284
; %bb.283:                              ;   in Loop: Header=BB0_90 Depth=1
	v_mov_b32_e32 v31, v40
	s_add_u32 s8, s36, 0x1000
	s_addc_u32 s9, s37, 0
	s_getpc_b64 s[16:17]
	s_add_u32 s16, s16, _Z54ncclDevFunc_ReduceScatter_RING_LL_PreMulSum_bf16_0_0_1v@rel32@lo+4
	s_addc_u32 s17, s17, _Z54ncclDevFunc_ReduceScatter_RING_LL_PreMulSum_bf16_0_0_1v@rel32@hi+12
	s_mov_b64 s[4:5], s[48:49]
	s_mov_b64 s[6:7], s[38:39]
	;; [unrolled: 1-line block ×3, first 2 shown]
	s_mov_b32 s12, s51
	s_mov_b32 s13, s50
	;; [unrolled: 1-line block ×3, first 2 shown]
	s_swappc_b64 s[30:31], s[16:17]
	s_mov_b32 s4, 0
.LBB0_284:                              ;   in Loop: Header=BB0_90 Depth=1
	s_andn2_b32 vcc_lo, exec_lo, s4
	s_cbranch_vccnz .LBB0_286
; %bb.285:                              ;   in Loop: Header=BB0_90 Depth=1
	v_mov_b32_e32 v31, v40
	s_add_u32 s8, s36, 0x1000
	s_addc_u32 s9, s37, 0
	s_getpc_b64 s[16:17]
	s_add_u32 s16, s16, _Z53ncclDevFunc_ReduceScatter_RING_LL_PreMulSum_f64_0_0_1v@rel32@lo+4
	s_addc_u32 s17, s17, _Z53ncclDevFunc_ReduceScatter_RING_LL_PreMulSum_f64_0_0_1v@rel32@hi+12
	s_mov_b64 s[4:5], s[48:49]
	s_mov_b64 s[6:7], s[38:39]
	;; [unrolled: 1-line block ×3, first 2 shown]
	s_mov_b32 s12, s51
	s_mov_b32 s13, s50
	;; [unrolled: 1-line block ×3, first 2 shown]
	s_swappc_b64 s[30:31], s[16:17]
.LBB0_286:                              ;   in Loop: Header=BB0_90 Depth=1
	s_mov_b32 s4, 0
.LBB0_287:                              ;   in Loop: Header=BB0_90 Depth=1
	s_andn2_b32 vcc_lo, exec_lo, s4
	s_cbranch_vccnz .LBB0_289
; %bb.288:                              ;   in Loop: Header=BB0_90 Depth=1
	v_mov_b32_e32 v31, v40
	s_add_u32 s8, s36, 0x1000
	s_addc_u32 s9, s37, 0
	s_getpc_b64 s[16:17]
	s_add_u32 s16, s16, _Z53ncclDevFunc_ReduceScatter_RING_LL_PreMulSum_f32_0_0_1v@rel32@lo+4
	s_addc_u32 s17, s17, _Z53ncclDevFunc_ReduceScatter_RING_LL_PreMulSum_f32_0_0_1v@rel32@hi+12
	s_mov_b64 s[4:5], s[48:49]
	s_mov_b64 s[6:7], s[38:39]
	;; [unrolled: 1-line block ×3, first 2 shown]
	s_mov_b32 s12, s51
	s_mov_b32 s13, s50
	;; [unrolled: 1-line block ×3, first 2 shown]
	s_swappc_b64 s[30:31], s[16:17]
.LBB0_289:                              ;   in Loop: Header=BB0_90 Depth=1
	s_mov_b32 s4, 0
.LBB0_290:                              ;   in Loop: Header=BB0_90 Depth=1
	s_andn2_b32 vcc_lo, exec_lo, s4
	s_cbranch_vccnz .LBB0_310
; %bb.291:                              ;   in Loop: Header=BB0_90 Depth=1
	s_cmpk_gt_u32 s65, 0x4f
	s_mov_b32 s4, -1
	s_cbranch_scc0 .LBB0_301
; %bb.292:                              ;   in Loop: Header=BB0_90 Depth=1
	s_sext_i32_i16 s4, s64
	s_cmpk_lt_i32 s4, 0x51
	s_mov_b32 s4, -1
	s_cbranch_scc1 .LBB0_298
; %bb.293:                              ;   in Loop: Header=BB0_90 Depth=1
	s_cmpk_lg_i32 s65, 0x51
	s_cbranch_scc0 .LBB0_295
; %bb.294:                              ;   in Loop: Header=BB0_90 Depth=1
	v_mov_b32_e32 v31, v40
	s_add_u32 s8, s36, 0x1000
	s_addc_u32 s9, s37, 0
	s_getpc_b64 s[16:17]
	s_add_u32 s16, s16, _Z53ncclDevFunc_ReduceScatter_RING_LL_PreMulSum_f16_0_0_1v@rel32@lo+4
	s_addc_u32 s17, s17, _Z53ncclDevFunc_ReduceScatter_RING_LL_PreMulSum_f16_0_0_1v@rel32@hi+12
	s_mov_b64 s[4:5], s[48:49]
	s_mov_b64 s[6:7], s[38:39]
	;; [unrolled: 1-line block ×3, first 2 shown]
	s_mov_b32 s12, s51
	s_mov_b32 s13, s50
	;; [unrolled: 1-line block ×3, first 2 shown]
	s_swappc_b64 s[30:31], s[16:17]
	s_mov_b32 s4, 0
.LBB0_295:                              ;   in Loop: Header=BB0_90 Depth=1
	s_andn2_b32 vcc_lo, exec_lo, s4
	s_cbranch_vccnz .LBB0_297
; %bb.296:                              ;   in Loop: Header=BB0_90 Depth=1
	v_mov_b32_e32 v31, v40
	s_add_u32 s8, s36, 0x1000
	s_addc_u32 s9, s37, 0
	s_getpc_b64 s[16:17]
	s_add_u32 s16, s16, _Z53ncclDevFunc_ReduceScatter_RING_LL_PreMulSum_u64_0_0_1v@rel32@lo+4
	s_addc_u32 s17, s17, _Z53ncclDevFunc_ReduceScatter_RING_LL_PreMulSum_u64_0_0_1v@rel32@hi+12
	s_mov_b64 s[4:5], s[48:49]
	s_mov_b64 s[6:7], s[38:39]
	;; [unrolled: 1-line block ×3, first 2 shown]
	s_mov_b32 s12, s51
	s_mov_b32 s13, s50
	;; [unrolled: 1-line block ×3, first 2 shown]
	s_swappc_b64 s[30:31], s[16:17]
.LBB0_297:                              ;   in Loop: Header=BB0_90 Depth=1
	s_mov_b32 s4, 0
.LBB0_298:                              ;   in Loop: Header=BB0_90 Depth=1
	s_andn2_b32 vcc_lo, exec_lo, s4
	s_cbranch_vccnz .LBB0_300
; %bb.299:                              ;   in Loop: Header=BB0_90 Depth=1
	v_mov_b32_e32 v31, v40
	s_add_u32 s8, s36, 0x1000
	s_addc_u32 s9, s37, 0
	s_getpc_b64 s[16:17]
	s_add_u32 s16, s16, _Z53ncclDevFunc_ReduceScatter_RING_LL_PreMulSum_u32_0_0_1v@rel32@lo+4
	s_addc_u32 s17, s17, _Z53ncclDevFunc_ReduceScatter_RING_LL_PreMulSum_u32_0_0_1v@rel32@hi+12
	s_mov_b64 s[4:5], s[48:49]
	s_mov_b64 s[6:7], s[38:39]
	;; [unrolled: 1-line block ×3, first 2 shown]
	s_mov_b32 s12, s51
	s_mov_b32 s13, s50
	;; [unrolled: 1-line block ×3, first 2 shown]
	s_swappc_b64 s[30:31], s[16:17]
.LBB0_300:                              ;   in Loop: Header=BB0_90 Depth=1
	s_mov_b32 s4, 0
.LBB0_301:                              ;   in Loop: Header=BB0_90 Depth=1
	s_and_b32 vcc_lo, exec_lo, s4
	s_cbranch_vccz .LBB0_310
; %bb.302:                              ;   in Loop: Header=BB0_90 Depth=1
	s_sext_i32_i16 s4, s64
	s_cmpk_lt_i32 s4, 0x4e
	s_mov_b32 s4, -1
	s_cbranch_scc1 .LBB0_308
; %bb.303:                              ;   in Loop: Header=BB0_90 Depth=1
	s_cmpk_lg_i32 s65, 0x4e
	s_cbranch_scc0 .LBB0_305
; %bb.304:                              ;   in Loop: Header=BB0_90 Depth=1
	v_mov_b32_e32 v31, v40
	s_add_u32 s8, s36, 0x1000
	s_addc_u32 s9, s37, 0
	s_getpc_b64 s[16:17]
	s_add_u32 s16, s16, _Z52ncclDevFunc_ReduceScatter_RING_LL_PreMulSum_u8_0_0_1v@rel32@lo+4
	s_addc_u32 s17, s17, _Z52ncclDevFunc_ReduceScatter_RING_LL_PreMulSum_u8_0_0_1v@rel32@hi+12
	s_mov_b64 s[4:5], s[48:49]
	s_mov_b64 s[6:7], s[38:39]
	;; [unrolled: 1-line block ×3, first 2 shown]
	s_mov_b32 s12, s51
	s_mov_b32 s13, s50
	;; [unrolled: 1-line block ×3, first 2 shown]
	s_swappc_b64 s[30:31], s[16:17]
	s_mov_b32 s4, 0
.LBB0_305:                              ;   in Loop: Header=BB0_90 Depth=1
	s_andn2_b32 vcc_lo, exec_lo, s4
	s_cbranch_vccnz .LBB0_307
; %bb.306:                              ;   in Loop: Header=BB0_90 Depth=1
	v_mov_b32_e32 v31, v40
	s_add_u32 s8, s36, 0x1000
	s_addc_u32 s9, s37, 0
	s_getpc_b64 s[16:17]
	s_add_u32 s16, s16, _Z53ncclDevFunc_ReduceScatter_RING_LL_MinMax_f8e5m2_0_0_1v@rel32@lo+4
	s_addc_u32 s17, s17, _Z53ncclDevFunc_ReduceScatter_RING_LL_MinMax_f8e5m2_0_0_1v@rel32@hi+12
	s_mov_b64 s[4:5], s[48:49]
	s_mov_b64 s[6:7], s[38:39]
	;; [unrolled: 1-line block ×3, first 2 shown]
	s_mov_b32 s12, s51
	s_mov_b32 s13, s50
	;; [unrolled: 1-line block ×3, first 2 shown]
	s_swappc_b64 s[30:31], s[16:17]
.LBB0_307:                              ;   in Loop: Header=BB0_90 Depth=1
	s_mov_b32 s4, 0
.LBB0_308:                              ;   in Loop: Header=BB0_90 Depth=1
	s_andn2_b32 vcc_lo, exec_lo, s4
	s_cbranch_vccnz .LBB0_310
; %bb.309:                              ;   in Loop: Header=BB0_90 Depth=1
	v_mov_b32_e32 v31, v40
	s_add_u32 s8, s36, 0x1000
	s_addc_u32 s9, s37, 0
	s_getpc_b64 s[16:17]
	s_add_u32 s16, s16, _Z53ncclDevFunc_ReduceScatter_RING_LL_MinMax_f8e4m3_0_0_1v@rel32@lo+4
	s_addc_u32 s17, s17, _Z53ncclDevFunc_ReduceScatter_RING_LL_MinMax_f8e4m3_0_0_1v@rel32@hi+12
	s_mov_b64 s[4:5], s[48:49]
	s_mov_b64 s[6:7], s[38:39]
	;; [unrolled: 1-line block ×3, first 2 shown]
	s_mov_b32 s12, s51
	s_mov_b32 s13, s50
	;; [unrolled: 1-line block ×3, first 2 shown]
	s_swappc_b64 s[30:31], s[16:17]
.LBB0_310:                              ;   in Loop: Header=BB0_90 Depth=1
	s_mov_b32 s4, 0
.LBB0_311:                              ;   in Loop: Header=BB0_90 Depth=1
	s_andn2_b32 vcc_lo, exec_lo, s4
	s_cbranch_vccnz .LBB0_349
; %bb.312:                              ;   in Loop: Header=BB0_90 Depth=1
	s_cmpk_gt_u32 s65, 0x46
	s_mov_b32 s4, -1
	s_cbranch_scc0 .LBB0_333
; %bb.313:                              ;   in Loop: Header=BB0_90 Depth=1
	s_cmpk_gt_u32 s65, 0x49
	s_cbranch_scc0 .LBB0_323
; %bb.314:                              ;   in Loop: Header=BB0_90 Depth=1
	s_sext_i32_i16 s4, s64
	s_cmpk_lt_i32 s4, 0x4b
	s_mov_b32 s4, -1
	s_cbranch_scc1 .LBB0_320
; %bb.315:                              ;   in Loop: Header=BB0_90 Depth=1
	s_cmpk_lg_i32 s65, 0x4b
	s_cbranch_scc0 .LBB0_317
; %bb.316:                              ;   in Loop: Header=BB0_90 Depth=1
	v_mov_b32_e32 v31, v40
	s_add_u32 s8, s36, 0x1000
	s_addc_u32 s9, s37, 0
	s_getpc_b64 s[16:17]
	s_add_u32 s16, s16, _Z51ncclDevFunc_ReduceScatter_RING_LL_MinMax_bf16_0_0_1v@rel32@lo+4
	s_addc_u32 s17, s17, _Z51ncclDevFunc_ReduceScatter_RING_LL_MinMax_bf16_0_0_1v@rel32@hi+12
	s_mov_b64 s[4:5], s[48:49]
	s_mov_b64 s[6:7], s[38:39]
	;; [unrolled: 1-line block ×3, first 2 shown]
	s_mov_b32 s12, s51
	s_mov_b32 s13, s50
	;; [unrolled: 1-line block ×3, first 2 shown]
	s_swappc_b64 s[30:31], s[16:17]
	s_mov_b32 s4, 0
.LBB0_317:                              ;   in Loop: Header=BB0_90 Depth=1
	s_andn2_b32 vcc_lo, exec_lo, s4
	s_cbranch_vccnz .LBB0_319
; %bb.318:                              ;   in Loop: Header=BB0_90 Depth=1
	v_mov_b32_e32 v31, v40
	s_add_u32 s8, s36, 0x1000
	s_addc_u32 s9, s37, 0
	s_getpc_b64 s[16:17]
	s_add_u32 s16, s16, _Z50ncclDevFunc_ReduceScatter_RING_LL_MinMax_f64_0_0_1v@rel32@lo+4
	s_addc_u32 s17, s17, _Z50ncclDevFunc_ReduceScatter_RING_LL_MinMax_f64_0_0_1v@rel32@hi+12
	s_mov_b64 s[4:5], s[48:49]
	s_mov_b64 s[6:7], s[38:39]
	;; [unrolled: 1-line block ×3, first 2 shown]
	s_mov_b32 s12, s51
	s_mov_b32 s13, s50
	;; [unrolled: 1-line block ×3, first 2 shown]
	s_swappc_b64 s[30:31], s[16:17]
.LBB0_319:                              ;   in Loop: Header=BB0_90 Depth=1
	s_mov_b32 s4, 0
.LBB0_320:                              ;   in Loop: Header=BB0_90 Depth=1
	s_andn2_b32 vcc_lo, exec_lo, s4
	s_cbranch_vccnz .LBB0_322
; %bb.321:                              ;   in Loop: Header=BB0_90 Depth=1
	v_mov_b32_e32 v31, v40
	s_add_u32 s8, s36, 0x1000
	s_addc_u32 s9, s37, 0
	s_getpc_b64 s[16:17]
	s_add_u32 s16, s16, _Z50ncclDevFunc_ReduceScatter_RING_LL_MinMax_f32_0_0_1v@rel32@lo+4
	s_addc_u32 s17, s17, _Z50ncclDevFunc_ReduceScatter_RING_LL_MinMax_f32_0_0_1v@rel32@hi+12
	s_mov_b64 s[4:5], s[48:49]
	s_mov_b64 s[6:7], s[38:39]
	;; [unrolled: 1-line block ×3, first 2 shown]
	s_mov_b32 s12, s51
	s_mov_b32 s13, s50
	;; [unrolled: 1-line block ×3, first 2 shown]
	s_swappc_b64 s[30:31], s[16:17]
.LBB0_322:                              ;   in Loop: Header=BB0_90 Depth=1
	s_mov_b32 s4, 0
.LBB0_323:                              ;   in Loop: Header=BB0_90 Depth=1
	s_and_b32 vcc_lo, exec_lo, s4
	s_cbranch_vccz .LBB0_332
; %bb.324:                              ;   in Loop: Header=BB0_90 Depth=1
	s_sext_i32_i16 s4, s64
	s_cmpk_lt_i32 s4, 0x48
	s_mov_b32 s4, -1
	s_cbranch_scc1 .LBB0_330
; %bb.325:                              ;   in Loop: Header=BB0_90 Depth=1
	s_cmpk_lg_i32 s65, 0x48
	s_cbranch_scc0 .LBB0_327
; %bb.326:                              ;   in Loop: Header=BB0_90 Depth=1
	v_mov_b32_e32 v31, v40
	s_add_u32 s8, s36, 0x1000
	s_addc_u32 s9, s37, 0
	s_getpc_b64 s[16:17]
	s_add_u32 s16, s16, _Z50ncclDevFunc_ReduceScatter_RING_LL_MinMax_f16_0_0_1v@rel32@lo+4
	s_addc_u32 s17, s17, _Z50ncclDevFunc_ReduceScatter_RING_LL_MinMax_f16_0_0_1v@rel32@hi+12
	s_mov_b64 s[4:5], s[48:49]
	s_mov_b64 s[6:7], s[38:39]
	s_mov_b64 s[10:11], s[34:35]
	s_mov_b32 s12, s51
	s_mov_b32 s13, s50
	;; [unrolled: 1-line block ×3, first 2 shown]
	s_swappc_b64 s[30:31], s[16:17]
	s_mov_b32 s4, 0
.LBB0_327:                              ;   in Loop: Header=BB0_90 Depth=1
	s_andn2_b32 vcc_lo, exec_lo, s4
	s_cbranch_vccnz .LBB0_329
; %bb.328:                              ;   in Loop: Header=BB0_90 Depth=1
	v_mov_b32_e32 v31, v40
	s_add_u32 s8, s36, 0x1000
	s_addc_u32 s9, s37, 0
	s_getpc_b64 s[16:17]
	s_add_u32 s16, s16, _Z50ncclDevFunc_ReduceScatter_RING_LL_MinMax_u64_0_0_1v@rel32@lo+4
	s_addc_u32 s17, s17, _Z50ncclDevFunc_ReduceScatter_RING_LL_MinMax_u64_0_0_1v@rel32@hi+12
	s_mov_b64 s[4:5], s[48:49]
	s_mov_b64 s[6:7], s[38:39]
	;; [unrolled: 1-line block ×3, first 2 shown]
	s_mov_b32 s12, s51
	s_mov_b32 s13, s50
	s_mov_b32 s14, s33
	s_swappc_b64 s[30:31], s[16:17]
.LBB0_329:                              ;   in Loop: Header=BB0_90 Depth=1
	s_mov_b32 s4, 0
.LBB0_330:                              ;   in Loop: Header=BB0_90 Depth=1
	s_andn2_b32 vcc_lo, exec_lo, s4
	s_cbranch_vccnz .LBB0_332
; %bb.331:                              ;   in Loop: Header=BB0_90 Depth=1
	v_mov_b32_e32 v31, v40
	s_add_u32 s8, s36, 0x1000
	s_addc_u32 s9, s37, 0
	s_getpc_b64 s[16:17]
	s_add_u32 s16, s16, _Z50ncclDevFunc_ReduceScatter_RING_LL_MinMax_u32_0_0_1v@rel32@lo+4
	s_addc_u32 s17, s17, _Z50ncclDevFunc_ReduceScatter_RING_LL_MinMax_u32_0_0_1v@rel32@hi+12
	s_mov_b64 s[4:5], s[48:49]
	s_mov_b64 s[6:7], s[38:39]
	;; [unrolled: 1-line block ×3, first 2 shown]
	s_mov_b32 s12, s51
	s_mov_b32 s13, s50
	;; [unrolled: 1-line block ×3, first 2 shown]
	s_swappc_b64 s[30:31], s[16:17]
.LBB0_332:                              ;   in Loop: Header=BB0_90 Depth=1
	s_mov_b32 s4, 0
.LBB0_333:                              ;   in Loop: Header=BB0_90 Depth=1
	s_andn2_b32 vcc_lo, exec_lo, s4
	s_cbranch_vccnz .LBB0_349
; %bb.334:                              ;   in Loop: Header=BB0_90 Depth=1
	s_cmpk_gt_u32 s65, 0x43
	s_mov_b32 s4, -1
	s_cbranch_scc0 .LBB0_344
; %bb.335:                              ;   in Loop: Header=BB0_90 Depth=1
	s_sext_i32_i16 s4, s64
	s_cmpk_lt_i32 s4, 0x45
	s_mov_b32 s4, -1
	s_cbranch_scc1 .LBB0_341
; %bb.336:                              ;   in Loop: Header=BB0_90 Depth=1
	s_cmpk_lg_i32 s65, 0x45
	s_cbranch_scc0 .LBB0_338
; %bb.337:                              ;   in Loop: Header=BB0_90 Depth=1
	v_mov_b32_e32 v31, v40
	s_add_u32 s8, s36, 0x1000
	s_addc_u32 s9, s37, 0
	s_getpc_b64 s[16:17]
	s_add_u32 s16, s16, _Z49ncclDevFunc_ReduceScatter_RING_LL_MinMax_u8_0_0_1v@rel32@lo+4
	s_addc_u32 s17, s17, _Z49ncclDevFunc_ReduceScatter_RING_LL_MinMax_u8_0_0_1v@rel32@hi+12
	s_mov_b64 s[4:5], s[48:49]
	s_mov_b64 s[6:7], s[38:39]
	;; [unrolled: 1-line block ×3, first 2 shown]
	s_mov_b32 s12, s51
	s_mov_b32 s13, s50
	;; [unrolled: 1-line block ×3, first 2 shown]
	s_swappc_b64 s[30:31], s[16:17]
	s_mov_b32 s4, 0
.LBB0_338:                              ;   in Loop: Header=BB0_90 Depth=1
	s_andn2_b32 vcc_lo, exec_lo, s4
	s_cbranch_vccnz .LBB0_340
; %bb.339:                              ;   in Loop: Header=BB0_90 Depth=1
	v_mov_b32_e32 v31, v40
	s_add_u32 s8, s36, 0x1000
	s_addc_u32 s9, s37, 0
	s_getpc_b64 s[16:17]
	s_add_u32 s16, s16, _Z51ncclDevFunc_ReduceScatter_RING_LL_Prod_f8e5m2_0_0_1v@rel32@lo+4
	s_addc_u32 s17, s17, _Z51ncclDevFunc_ReduceScatter_RING_LL_Prod_f8e5m2_0_0_1v@rel32@hi+12
	s_mov_b64 s[4:5], s[48:49]
	s_mov_b64 s[6:7], s[38:39]
	;; [unrolled: 1-line block ×3, first 2 shown]
	s_mov_b32 s12, s51
	s_mov_b32 s13, s50
	;; [unrolled: 1-line block ×3, first 2 shown]
	s_swappc_b64 s[30:31], s[16:17]
.LBB0_340:                              ;   in Loop: Header=BB0_90 Depth=1
	s_mov_b32 s4, 0
.LBB0_341:                              ;   in Loop: Header=BB0_90 Depth=1
	s_andn2_b32 vcc_lo, exec_lo, s4
	s_cbranch_vccnz .LBB0_343
; %bb.342:                              ;   in Loop: Header=BB0_90 Depth=1
	v_mov_b32_e32 v31, v40
	s_add_u32 s8, s36, 0x1000
	s_addc_u32 s9, s37, 0
	s_getpc_b64 s[16:17]
	s_add_u32 s16, s16, _Z51ncclDevFunc_ReduceScatter_RING_LL_Prod_f8e4m3_0_0_1v@rel32@lo+4
	s_addc_u32 s17, s17, _Z51ncclDevFunc_ReduceScatter_RING_LL_Prod_f8e4m3_0_0_1v@rel32@hi+12
	s_mov_b64 s[4:5], s[48:49]
	s_mov_b64 s[6:7], s[38:39]
	;; [unrolled: 1-line block ×3, first 2 shown]
	s_mov_b32 s12, s51
	s_mov_b32 s13, s50
	;; [unrolled: 1-line block ×3, first 2 shown]
	s_swappc_b64 s[30:31], s[16:17]
.LBB0_343:                              ;   in Loop: Header=BB0_90 Depth=1
	s_mov_b32 s4, 0
.LBB0_344:                              ;   in Loop: Header=BB0_90 Depth=1
	s_and_b32 vcc_lo, exec_lo, s4
	s_cbranch_vccz .LBB0_349
; %bb.345:                              ;   in Loop: Header=BB0_90 Depth=1
	s_cmpk_eq_i32 s65, 0x43
	s_mov_b32 s4, -1
	s_cbranch_scc1 .LBB0_347
; %bb.346:                              ;   in Loop: Header=BB0_90 Depth=1
	v_mov_b32_e32 v31, v40
	s_add_u32 s8, s36, 0x1000
	s_addc_u32 s9, s37, 0
	s_getpc_b64 s[16:17]
	s_add_u32 s16, s16, _Z48ncclDevFunc_ReduceScatter_RING_LL_Prod_f64_0_0_1v@rel32@lo+4
	s_addc_u32 s17, s17, _Z48ncclDevFunc_ReduceScatter_RING_LL_Prod_f64_0_0_1v@rel32@hi+12
	s_mov_b64 s[4:5], s[48:49]
	s_mov_b64 s[6:7], s[38:39]
	;; [unrolled: 1-line block ×3, first 2 shown]
	s_mov_b32 s12, s51
	s_mov_b32 s13, s50
	;; [unrolled: 1-line block ×3, first 2 shown]
	s_swappc_b64 s[30:31], s[16:17]
	s_mov_b32 s4, 0
.LBB0_347:                              ;   in Loop: Header=BB0_90 Depth=1
	s_andn2_b32 vcc_lo, exec_lo, s4
	s_cbranch_vccnz .LBB0_349
; %bb.348:                              ;   in Loop: Header=BB0_90 Depth=1
	v_mov_b32_e32 v31, v40
	s_add_u32 s8, s36, 0x1000
	s_addc_u32 s9, s37, 0
	s_getpc_b64 s[16:17]
	s_add_u32 s16, s16, _Z49ncclDevFunc_ReduceScatter_RING_LL_Prod_bf16_0_0_1v@rel32@lo+4
	s_addc_u32 s17, s17, _Z49ncclDevFunc_ReduceScatter_RING_LL_Prod_bf16_0_0_1v@rel32@hi+12
	s_mov_b64 s[4:5], s[48:49]
	s_mov_b64 s[6:7], s[38:39]
	;; [unrolled: 1-line block ×3, first 2 shown]
	s_mov_b32 s12, s51
	s_mov_b32 s13, s50
	;; [unrolled: 1-line block ×3, first 2 shown]
	s_swappc_b64 s[30:31], s[16:17]
.LBB0_349:                              ;   in Loop: Header=BB0_90 Depth=1
	s_mov_b32 s4, 0
.LBB0_350:                              ;   in Loop: Header=BB0_90 Depth=1
	s_andn2_b32 vcc_lo, exec_lo, s4
	s_cbranch_vccnz .LBB0_420
; %bb.351:                              ;   in Loop: Header=BB0_90 Depth=1
	s_cmp_gt_u32 s65, 54
	s_mov_b32 s4, -1
	s_cbranch_scc0 .LBB0_390
; %bb.352:                              ;   in Loop: Header=BB0_90 Depth=1
	s_cmp_gt_u32 s65, 59
	s_cbranch_scc0 .LBB0_373
; %bb.353:                              ;   in Loop: Header=BB0_90 Depth=1
	s_cmp_gt_u32 s65, 62
	s_cbranch_scc0 .LBB0_363
; %bb.354:                              ;   in Loop: Header=BB0_90 Depth=1
	s_sext_i32_i16 s4, s64
	s_cmp_lt_i32 s4, 64
	s_mov_b32 s4, -1
	s_cbranch_scc1 .LBB0_360
; %bb.355:                              ;   in Loop: Header=BB0_90 Depth=1
	s_cmp_lg_u32 s65, 64
	s_cbranch_scc0 .LBB0_357
; %bb.356:                              ;   in Loop: Header=BB0_90 Depth=1
	v_mov_b32_e32 v31, v40
	s_add_u32 s8, s36, 0x1000
	s_addc_u32 s9, s37, 0
	s_getpc_b64 s[16:17]
	s_add_u32 s16, s16, _Z48ncclDevFunc_ReduceScatter_RING_LL_Prod_f32_0_0_1v@rel32@lo+4
	s_addc_u32 s17, s17, _Z48ncclDevFunc_ReduceScatter_RING_LL_Prod_f32_0_0_1v@rel32@hi+12
	s_mov_b64 s[4:5], s[48:49]
	s_mov_b64 s[6:7], s[38:39]
	;; [unrolled: 1-line block ×3, first 2 shown]
	s_mov_b32 s12, s51
	s_mov_b32 s13, s50
	s_mov_b32 s14, s33
	s_swappc_b64 s[30:31], s[16:17]
	s_mov_b32 s4, 0
.LBB0_357:                              ;   in Loop: Header=BB0_90 Depth=1
	s_andn2_b32 vcc_lo, exec_lo, s4
	s_cbranch_vccnz .LBB0_359
; %bb.358:                              ;   in Loop: Header=BB0_90 Depth=1
	v_mov_b32_e32 v31, v40
	s_add_u32 s8, s36, 0x1000
	s_addc_u32 s9, s37, 0
	s_getpc_b64 s[16:17]
	s_add_u32 s16, s16, _Z48ncclDevFunc_ReduceScatter_RING_LL_Prod_f16_0_0_1v@rel32@lo+4
	s_addc_u32 s17, s17, _Z48ncclDevFunc_ReduceScatter_RING_LL_Prod_f16_0_0_1v@rel32@hi+12
	s_mov_b64 s[4:5], s[48:49]
	s_mov_b64 s[6:7], s[38:39]
	;; [unrolled: 1-line block ×3, first 2 shown]
	s_mov_b32 s12, s51
	s_mov_b32 s13, s50
	;; [unrolled: 1-line block ×3, first 2 shown]
	s_swappc_b64 s[30:31], s[16:17]
.LBB0_359:                              ;   in Loop: Header=BB0_90 Depth=1
	s_mov_b32 s4, 0
.LBB0_360:                              ;   in Loop: Header=BB0_90 Depth=1
	s_andn2_b32 vcc_lo, exec_lo, s4
	s_cbranch_vccnz .LBB0_362
; %bb.361:                              ;   in Loop: Header=BB0_90 Depth=1
	v_mov_b32_e32 v31, v40
	s_add_u32 s8, s36, 0x1000
	s_addc_u32 s9, s37, 0
	s_getpc_b64 s[16:17]
	s_add_u32 s16, s16, _Z48ncclDevFunc_ReduceScatter_RING_LL_Prod_u64_0_0_1v@rel32@lo+4
	s_addc_u32 s17, s17, _Z48ncclDevFunc_ReduceScatter_RING_LL_Prod_u64_0_0_1v@rel32@hi+12
	s_mov_b64 s[4:5], s[48:49]
	s_mov_b64 s[6:7], s[38:39]
	;; [unrolled: 1-line block ×3, first 2 shown]
	s_mov_b32 s12, s51
	s_mov_b32 s13, s50
	s_mov_b32 s14, s33
	s_swappc_b64 s[30:31], s[16:17]
.LBB0_362:                              ;   in Loop: Header=BB0_90 Depth=1
	s_mov_b32 s4, 0
.LBB0_363:                              ;   in Loop: Header=BB0_90 Depth=1
	s_and_b32 vcc_lo, exec_lo, s4
	s_cbranch_vccz .LBB0_372
; %bb.364:                              ;   in Loop: Header=BB0_90 Depth=1
	s_sext_i32_i16 s4, s64
	s_cmp_lt_i32 s4, 61
	s_mov_b32 s4, -1
	s_cbranch_scc1 .LBB0_370
; %bb.365:                              ;   in Loop: Header=BB0_90 Depth=1
	s_cmp_lg_u32 s65, 61
	s_cbranch_scc0 .LBB0_367
; %bb.366:                              ;   in Loop: Header=BB0_90 Depth=1
	v_mov_b32_e32 v31, v40
	s_add_u32 s8, s36, 0x1000
	s_addc_u32 s9, s37, 0
	s_getpc_b64 s[16:17]
	s_add_u32 s16, s16, _Z48ncclDevFunc_ReduceScatter_RING_LL_Prod_u32_0_0_1v@rel32@lo+4
	s_addc_u32 s17, s17, _Z48ncclDevFunc_ReduceScatter_RING_LL_Prod_u32_0_0_1v@rel32@hi+12
	s_mov_b64 s[4:5], s[48:49]
	s_mov_b64 s[6:7], s[38:39]
	;; [unrolled: 1-line block ×3, first 2 shown]
	s_mov_b32 s12, s51
	s_mov_b32 s13, s50
	s_mov_b32 s14, s33
	s_swappc_b64 s[30:31], s[16:17]
	s_mov_b32 s4, 0
.LBB0_367:                              ;   in Loop: Header=BB0_90 Depth=1
	s_andn2_b32 vcc_lo, exec_lo, s4
	s_cbranch_vccnz .LBB0_369
; %bb.368:                              ;   in Loop: Header=BB0_90 Depth=1
	v_mov_b32_e32 v31, v40
	s_add_u32 s8, s36, 0x1000
	s_addc_u32 s9, s37, 0
	s_getpc_b64 s[16:17]
	s_add_u32 s16, s16, _Z47ncclDevFunc_ReduceScatter_RING_LL_Prod_u8_0_0_1v@rel32@lo+4
	s_addc_u32 s17, s17, _Z47ncclDevFunc_ReduceScatter_RING_LL_Prod_u8_0_0_1v@rel32@hi+12
	s_mov_b64 s[4:5], s[48:49]
	s_mov_b64 s[6:7], s[38:39]
	;; [unrolled: 1-line block ×3, first 2 shown]
	s_mov_b32 s12, s51
	s_mov_b32 s13, s50
	;; [unrolled: 1-line block ×3, first 2 shown]
	s_swappc_b64 s[30:31], s[16:17]
.LBB0_369:                              ;   in Loop: Header=BB0_90 Depth=1
	s_mov_b32 s4, 0
.LBB0_370:                              ;   in Loop: Header=BB0_90 Depth=1
	s_andn2_b32 vcc_lo, exec_lo, s4
	s_cbranch_vccnz .LBB0_372
; %bb.371:                              ;   in Loop: Header=BB0_90 Depth=1
	v_mov_b32_e32 v31, v40
	s_add_u32 s8, s36, 0x1000
	s_addc_u32 s9, s37, 0
	s_getpc_b64 s[16:17]
	s_add_u32 s16, s16, _Z50ncclDevFunc_ReduceScatter_RING_LL_Sum_f8e5m2_0_0_1v@rel32@lo+4
	s_addc_u32 s17, s17, _Z50ncclDevFunc_ReduceScatter_RING_LL_Sum_f8e5m2_0_0_1v@rel32@hi+12
	s_mov_b64 s[4:5], s[48:49]
	s_mov_b64 s[6:7], s[38:39]
	;; [unrolled: 1-line block ×3, first 2 shown]
	s_mov_b32 s12, s51
	s_mov_b32 s13, s50
	;; [unrolled: 1-line block ×3, first 2 shown]
	s_swappc_b64 s[30:31], s[16:17]
.LBB0_372:                              ;   in Loop: Header=BB0_90 Depth=1
	s_mov_b32 s4, 0
.LBB0_373:                              ;   in Loop: Header=BB0_90 Depth=1
	s_andn2_b32 vcc_lo, exec_lo, s4
	s_cbranch_vccnz .LBB0_389
; %bb.374:                              ;   in Loop: Header=BB0_90 Depth=1
	s_cmp_gt_u32 s65, 56
	s_mov_b32 s4, -1
	s_cbranch_scc0 .LBB0_384
; %bb.375:                              ;   in Loop: Header=BB0_90 Depth=1
	s_sext_i32_i16 s4, s64
	s_cmp_lt_i32 s4, 58
	s_mov_b32 s4, -1
	s_cbranch_scc1 .LBB0_381
; %bb.376:                              ;   in Loop: Header=BB0_90 Depth=1
	s_cmp_lg_u32 s65, 58
	s_cbranch_scc0 .LBB0_378
; %bb.377:                              ;   in Loop: Header=BB0_90 Depth=1
	v_mov_b32_e32 v31, v40
	s_add_u32 s8, s36, 0x1000
	s_addc_u32 s9, s37, 0
	s_getpc_b64 s[16:17]
	s_add_u32 s16, s16, _Z50ncclDevFunc_ReduceScatter_RING_LL_Sum_f8e4m3_0_0_1v@rel32@lo+4
	s_addc_u32 s17, s17, _Z50ncclDevFunc_ReduceScatter_RING_LL_Sum_f8e4m3_0_0_1v@rel32@hi+12
	s_mov_b64 s[4:5], s[48:49]
	s_mov_b64 s[6:7], s[38:39]
	;; [unrolled: 1-line block ×3, first 2 shown]
	s_mov_b32 s12, s51
	s_mov_b32 s13, s50
	;; [unrolled: 1-line block ×3, first 2 shown]
	s_swappc_b64 s[30:31], s[16:17]
	s_mov_b32 s4, 0
.LBB0_378:                              ;   in Loop: Header=BB0_90 Depth=1
	s_andn2_b32 vcc_lo, exec_lo, s4
	s_cbranch_vccnz .LBB0_380
; %bb.379:                              ;   in Loop: Header=BB0_90 Depth=1
	v_mov_b32_e32 v31, v40
	s_add_u32 s8, s36, 0x1000
	s_addc_u32 s9, s37, 0
	s_getpc_b64 s[16:17]
	s_add_u32 s16, s16, _Z48ncclDevFunc_ReduceScatter_RING_LL_Sum_bf16_0_0_1v@rel32@lo+4
	s_addc_u32 s17, s17, _Z48ncclDevFunc_ReduceScatter_RING_LL_Sum_bf16_0_0_1v@rel32@hi+12
	s_mov_b64 s[4:5], s[48:49]
	s_mov_b64 s[6:7], s[38:39]
	s_mov_b64 s[10:11], s[34:35]
	s_mov_b32 s12, s51
	s_mov_b32 s13, s50
	;; [unrolled: 1-line block ×3, first 2 shown]
	s_swappc_b64 s[30:31], s[16:17]
.LBB0_380:                              ;   in Loop: Header=BB0_90 Depth=1
	s_mov_b32 s4, 0
.LBB0_381:                              ;   in Loop: Header=BB0_90 Depth=1
	s_andn2_b32 vcc_lo, exec_lo, s4
	s_cbranch_vccnz .LBB0_383
; %bb.382:                              ;   in Loop: Header=BB0_90 Depth=1
	v_mov_b32_e32 v31, v40
	s_add_u32 s8, s36, 0x1000
	s_addc_u32 s9, s37, 0
	s_getpc_b64 s[16:17]
	s_add_u32 s16, s16, _Z47ncclDevFunc_ReduceScatter_RING_LL_Sum_f64_0_0_1v@rel32@lo+4
	s_addc_u32 s17, s17, _Z47ncclDevFunc_ReduceScatter_RING_LL_Sum_f64_0_0_1v@rel32@hi+12
	s_mov_b64 s[4:5], s[48:49]
	s_mov_b64 s[6:7], s[38:39]
	;; [unrolled: 1-line block ×3, first 2 shown]
	s_mov_b32 s12, s51
	s_mov_b32 s13, s50
	;; [unrolled: 1-line block ×3, first 2 shown]
	s_swappc_b64 s[30:31], s[16:17]
.LBB0_383:                              ;   in Loop: Header=BB0_90 Depth=1
	s_mov_b32 s4, 0
.LBB0_384:                              ;   in Loop: Header=BB0_90 Depth=1
	s_and_b32 vcc_lo, exec_lo, s4
	s_cbranch_vccz .LBB0_389
; %bb.385:                              ;   in Loop: Header=BB0_90 Depth=1
	s_cmp_eq_u32 s65, 56
	s_mov_b32 s4, -1
	s_cbranch_scc1 .LBB0_387
; %bb.386:                              ;   in Loop: Header=BB0_90 Depth=1
	v_mov_b32_e32 v31, v40
	s_add_u32 s8, s36, 0x1000
	s_addc_u32 s9, s37, 0
	s_getpc_b64 s[16:17]
	s_add_u32 s16, s16, _Z47ncclDevFunc_ReduceScatter_RING_LL_Sum_f16_0_0_1v@rel32@lo+4
	s_addc_u32 s17, s17, _Z47ncclDevFunc_ReduceScatter_RING_LL_Sum_f16_0_0_1v@rel32@hi+12
	s_mov_b64 s[4:5], s[48:49]
	s_mov_b64 s[6:7], s[38:39]
	;; [unrolled: 1-line block ×3, first 2 shown]
	s_mov_b32 s12, s51
	s_mov_b32 s13, s50
	s_mov_b32 s14, s33
	s_swappc_b64 s[30:31], s[16:17]
	s_mov_b32 s4, 0
.LBB0_387:                              ;   in Loop: Header=BB0_90 Depth=1
	s_andn2_b32 vcc_lo, exec_lo, s4
	s_cbranch_vccnz .LBB0_389
; %bb.388:                              ;   in Loop: Header=BB0_90 Depth=1
	v_mov_b32_e32 v31, v40
	s_add_u32 s8, s36, 0x1000
	s_addc_u32 s9, s37, 0
	s_getpc_b64 s[16:17]
	s_add_u32 s16, s16, _Z47ncclDevFunc_ReduceScatter_RING_LL_Sum_f32_0_0_1v@rel32@lo+4
	s_addc_u32 s17, s17, _Z47ncclDevFunc_ReduceScatter_RING_LL_Sum_f32_0_0_1v@rel32@hi+12
	s_mov_b64 s[4:5], s[48:49]
	s_mov_b64 s[6:7], s[38:39]
	;; [unrolled: 1-line block ×3, first 2 shown]
	s_mov_b32 s12, s51
	s_mov_b32 s13, s50
	;; [unrolled: 1-line block ×3, first 2 shown]
	s_swappc_b64 s[30:31], s[16:17]
.LBB0_389:                              ;   in Loop: Header=BB0_90 Depth=1
	s_mov_b32 s4, 0
.LBB0_390:                              ;   in Loop: Header=BB0_90 Depth=1
	s_andn2_b32 vcc_lo, exec_lo, s4
	s_cbranch_vccnz .LBB0_420
; %bb.391:                              ;   in Loop: Header=BB0_90 Depth=1
	s_cmp_gt_u32 s65, 48
	s_mov_b32 s4, -1
	s_cbranch_scc0 .LBB0_408
; %bb.392:                              ;   in Loop: Header=BB0_90 Depth=1
	s_cmp_gt_u32 s65, 51
	s_cbranch_scc0 .LBB0_402
; %bb.393:                              ;   in Loop: Header=BB0_90 Depth=1
	s_sext_i32_i16 s4, s64
	s_cmp_lt_i32 s4, 53
	s_mov_b32 s4, -1
	s_cbranch_scc1 .LBB0_399
; %bb.394:                              ;   in Loop: Header=BB0_90 Depth=1
	s_cmp_lg_u32 s65, 53
	s_cbranch_scc0 .LBB0_396
; %bb.395:                              ;   in Loop: Header=BB0_90 Depth=1
	v_mov_b32_e32 v31, v40
	s_add_u32 s8, s36, 0x1000
	s_addc_u32 s9, s37, 0
	s_getpc_b64 s[16:17]
	s_add_u32 s16, s16, _Z47ncclDevFunc_ReduceScatter_RING_LL_Sum_u64_0_0_1v@rel32@lo+4
	s_addc_u32 s17, s17, _Z47ncclDevFunc_ReduceScatter_RING_LL_Sum_u64_0_0_1v@rel32@hi+12
	s_mov_b64 s[4:5], s[48:49]
	s_mov_b64 s[6:7], s[38:39]
	;; [unrolled: 1-line block ×3, first 2 shown]
	s_mov_b32 s12, s51
	s_mov_b32 s13, s50
	;; [unrolled: 1-line block ×3, first 2 shown]
	s_swappc_b64 s[30:31], s[16:17]
	s_mov_b32 s4, 0
.LBB0_396:                              ;   in Loop: Header=BB0_90 Depth=1
	s_andn2_b32 vcc_lo, exec_lo, s4
	s_cbranch_vccnz .LBB0_398
; %bb.397:                              ;   in Loop: Header=BB0_90 Depth=1
	v_mov_b32_e32 v31, v40
	s_add_u32 s8, s36, 0x1000
	s_addc_u32 s9, s37, 0
	s_getpc_b64 s[16:17]
	s_add_u32 s16, s16, _Z47ncclDevFunc_ReduceScatter_RING_LL_Sum_u32_0_0_1v@rel32@lo+4
	s_addc_u32 s17, s17, _Z47ncclDevFunc_ReduceScatter_RING_LL_Sum_u32_0_0_1v@rel32@hi+12
	s_mov_b64 s[4:5], s[48:49]
	s_mov_b64 s[6:7], s[38:39]
	;; [unrolled: 1-line block ×3, first 2 shown]
	s_mov_b32 s12, s51
	s_mov_b32 s13, s50
	;; [unrolled: 1-line block ×3, first 2 shown]
	s_swappc_b64 s[30:31], s[16:17]
.LBB0_398:                              ;   in Loop: Header=BB0_90 Depth=1
	s_mov_b32 s4, 0
.LBB0_399:                              ;   in Loop: Header=BB0_90 Depth=1
	s_andn2_b32 vcc_lo, exec_lo, s4
	s_cbranch_vccnz .LBB0_401
; %bb.400:                              ;   in Loop: Header=BB0_90 Depth=1
	v_mov_b32_e32 v31, v40
	s_add_u32 s8, s36, 0x1000
	s_addc_u32 s9, s37, 0
	s_getpc_b64 s[16:17]
	s_add_u32 s16, s16, _Z46ncclDevFunc_ReduceScatter_RING_LL_Sum_u8_0_0_1v@rel32@lo+4
	s_addc_u32 s17, s17, _Z46ncclDevFunc_ReduceScatter_RING_LL_Sum_u8_0_0_1v@rel32@hi+12
	s_mov_b64 s[4:5], s[48:49]
	s_mov_b64 s[6:7], s[38:39]
	;; [unrolled: 1-line block ×3, first 2 shown]
	s_mov_b32 s12, s51
	s_mov_b32 s13, s50
	;; [unrolled: 1-line block ×3, first 2 shown]
	s_swappc_b64 s[30:31], s[16:17]
.LBB0_401:                              ;   in Loop: Header=BB0_90 Depth=1
	s_mov_b32 s4, 0
.LBB0_402:                              ;   in Loop: Header=BB0_90 Depth=1
	s_and_b32 vcc_lo, exec_lo, s4
	s_cbranch_vccz .LBB0_407
; %bb.403:                              ;   in Loop: Header=BB0_90 Depth=1
	s_cmp_lg_u32 s65, 49
	s_mov_b32 s4, -1
	s_cbranch_scc0 .LBB0_405
; %bb.404:                              ;   in Loop: Header=BB0_90 Depth=1
	v_mov_b32_e32 v31, v40
	s_add_u32 s8, s36, 0x1000
	s_addc_u32 s9, s37, 0
	s_getpc_b64 s[16:17]
	s_add_u32 s16, s16, _Z45ncclDevFunc_AllGather_PAT_SIMPLE_Sum_i8_0_0_1v@rel32@lo+4
	s_addc_u32 s17, s17, _Z45ncclDevFunc_AllGather_PAT_SIMPLE_Sum_i8_0_0_1v@rel32@hi+12
	s_mov_b64 s[4:5], s[48:49]
	s_mov_b64 s[6:7], s[38:39]
	;; [unrolled: 1-line block ×3, first 2 shown]
	s_mov_b32 s12, s51
	s_mov_b32 s13, s50
	;; [unrolled: 1-line block ×3, first 2 shown]
	s_swappc_b64 s[30:31], s[16:17]
	s_mov_b32 s4, 0
.LBB0_405:                              ;   in Loop: Header=BB0_90 Depth=1
	s_andn2_b32 vcc_lo, exec_lo, s4
	s_cbranch_vccnz .LBB0_407
; %bb.406:                              ;   in Loop: Header=BB0_90 Depth=1
	v_mov_b32_e32 v31, v40
	s_add_u32 s8, s36, 0x1000
	s_addc_u32 s9, s37, 0
	s_getpc_b64 s[16:17]
	s_add_u32 s16, s16, _Z41ncclDevFunc_AllGather_PAT_LL_Sum_i8_0_0_1v@rel32@lo+4
	s_addc_u32 s17, s17, _Z41ncclDevFunc_AllGather_PAT_LL_Sum_i8_0_0_1v@rel32@hi+12
	s_mov_b64 s[4:5], s[48:49]
	s_mov_b64 s[6:7], s[38:39]
	;; [unrolled: 1-line block ×3, first 2 shown]
	s_mov_b32 s12, s51
	s_mov_b32 s13, s50
	;; [unrolled: 1-line block ×3, first 2 shown]
	s_swappc_b64 s[30:31], s[16:17]
.LBB0_407:                              ;   in Loop: Header=BB0_90 Depth=1
	s_mov_b32 s4, 0
.LBB0_408:                              ;   in Loop: Header=BB0_90 Depth=1
	s_andn2_b32 vcc_lo, exec_lo, s4
	s_cbranch_vccnz .LBB0_420
; %bb.409:                              ;   in Loop: Header=BB0_90 Depth=1
	s_cmp_gt_u32 s65, 45
	s_mov_b32 s4, -1
	s_cbranch_scc0 .LBB0_415
; %bb.410:                              ;   in Loop: Header=BB0_90 Depth=1
	s_cmp_lg_u32 s65, 46
	s_cbranch_scc0 .LBB0_412
; %bb.411:                              ;   in Loop: Header=BB0_90 Depth=1
	v_mov_b32_e32 v31, v40
	s_add_u32 s8, s36, 0x1000
	s_addc_u32 s9, s37, 0
	s_getpc_b64 s[16:17]
	s_add_u32 s16, s16, _Z46ncclDevFunc_AllGather_RING_SIMPLE_Sum_i8_0_0_1v@rel32@lo+4
	s_addc_u32 s17, s17, _Z46ncclDevFunc_AllGather_RING_SIMPLE_Sum_i8_0_0_1v@rel32@hi+12
	s_mov_b64 s[4:5], s[48:49]
	s_mov_b64 s[6:7], s[38:39]
	;; [unrolled: 1-line block ×3, first 2 shown]
	s_mov_b32 s12, s51
	s_mov_b32 s13, s50
	;; [unrolled: 1-line block ×3, first 2 shown]
	s_swappc_b64 s[30:31], s[16:17]
	s_mov_b32 s4, 0
.LBB0_412:                              ;   in Loop: Header=BB0_90 Depth=1
	s_andn2_b32 vcc_lo, exec_lo, s4
	s_cbranch_vccnz .LBB0_414
; %bb.413:                              ;   in Loop: Header=BB0_90 Depth=1
	v_mov_b32_e32 v31, v40
	s_add_u32 s8, s36, 0x1000
	s_addc_u32 s9, s37, 0
	s_getpc_b64 s[16:17]
	s_add_u32 s16, s16, _Z42ncclDevFunc_AllGather_RING_LL_Sum_i8_0_0_1v@rel32@lo+4
	s_addc_u32 s17, s17, _Z42ncclDevFunc_AllGather_RING_LL_Sum_i8_0_0_1v@rel32@hi+12
	s_mov_b64 s[4:5], s[48:49]
	s_mov_b64 s[6:7], s[38:39]
	;; [unrolled: 1-line block ×3, first 2 shown]
	s_mov_b32 s12, s51
	s_mov_b32 s13, s50
	s_mov_b32 s14, s33
	s_swappc_b64 s[30:31], s[16:17]
.LBB0_414:                              ;   in Loop: Header=BB0_90 Depth=1
	s_mov_b32 s4, 0
.LBB0_415:                              ;   in Loop: Header=BB0_90 Depth=1
	s_andn2_b32 vcc_lo, exec_lo, s4
	s_cbranch_vccnz .LBB0_420
; %bb.416:                              ;   in Loop: Header=BB0_90 Depth=1
	s_cmp_eq_u32 s65, 45
	s_mov_b32 s4, -1
	s_cbranch_scc1 .LBB0_418
; %bb.417:                              ;   in Loop: Header=BB0_90 Depth=1
	v_mov_b32_e32 v31, v40
	s_add_u32 s8, s36, 0x1000
	s_addc_u32 s9, s37, 0
	s_getpc_b64 s[16:17]
	s_add_u32 s16, s16, _Z51ncclDevFunc_Reduce_RING_SIMPLE_SumPostDiv_u32_0_0_1v@rel32@lo+4
	s_addc_u32 s17, s17, _Z51ncclDevFunc_Reduce_RING_SIMPLE_SumPostDiv_u32_0_0_1v@rel32@hi+12
	s_mov_b64 s[4:5], s[48:49]
	s_mov_b64 s[6:7], s[38:39]
	;; [unrolled: 1-line block ×3, first 2 shown]
	s_mov_b32 s12, s51
	s_mov_b32 s13, s50
	;; [unrolled: 1-line block ×3, first 2 shown]
	s_swappc_b64 s[30:31], s[16:17]
	s_mov_b32 s4, 0
.LBB0_418:                              ;   in Loop: Header=BB0_90 Depth=1
	s_andn2_b32 vcc_lo, exec_lo, s4
	s_cbranch_vccnz .LBB0_420
; %bb.419:                              ;   in Loop: Header=BB0_90 Depth=1
	v_mov_b32_e32 v31, v40
	s_add_u32 s8, s36, 0x1000
	s_addc_u32 s9, s37, 0
	s_getpc_b64 s[16:17]
	s_add_u32 s16, s16, _Z51ncclDevFunc_Reduce_RING_SIMPLE_SumPostDiv_u64_0_0_1v@rel32@lo+4
	s_addc_u32 s17, s17, _Z51ncclDevFunc_Reduce_RING_SIMPLE_SumPostDiv_u64_0_0_1v@rel32@hi+12
	s_mov_b64 s[4:5], s[48:49]
	s_mov_b64 s[6:7], s[38:39]
	;; [unrolled: 1-line block ×3, first 2 shown]
	s_mov_b32 s12, s51
	s_mov_b32 s13, s50
	;; [unrolled: 1-line block ×3, first 2 shown]
	s_swappc_b64 s[30:31], s[16:17]
.LBB0_420:                              ;   in Loop: Header=BB0_90 Depth=1
	s_mov_b32 s4, 0
.LBB0_421:                              ;   in Loop: Header=BB0_90 Depth=1
	s_andn2_b32 vcc_lo, exec_lo, s4
	s_cbranch_vccnz .LBB0_576
; %bb.422:                              ;   in Loop: Header=BB0_90 Depth=1
	s_cmp_gt_u32 s65, 21
	s_mov_b32 s4, -1
	s_cbranch_scc0 .LBB0_501
; %bb.423:                              ;   in Loop: Header=BB0_90 Depth=1
	s_cmp_gt_u32 s65, 32
	s_cbranch_scc0 .LBB0_462
; %bb.424:                              ;   in Loop: Header=BB0_90 Depth=1
	s_cmp_gt_u32 s65, 37
	;; [unrolled: 3-line block ×3, first 2 shown]
	s_cbranch_scc0 .LBB0_435
; %bb.426:                              ;   in Loop: Header=BB0_90 Depth=1
	s_sext_i32_i16 s4, s64
	s_cmp_lt_i32 s4, 42
	s_mov_b32 s4, -1
	s_cbranch_scc1 .LBB0_432
; %bb.427:                              ;   in Loop: Header=BB0_90 Depth=1
	s_cmp_lg_u32 s65, 42
	s_cbranch_scc0 .LBB0_429
; %bb.428:                              ;   in Loop: Header=BB0_90 Depth=1
	v_mov_b32_e32 v31, v40
	s_add_u32 s8, s36, 0x1000
	s_addc_u32 s9, s37, 0
	s_getpc_b64 s[16:17]
	s_add_u32 s16, s16, _Z50ncclDevFunc_Reduce_RING_SIMPLE_SumPostDiv_u8_0_0_1v@rel32@lo+4
	s_addc_u32 s17, s17, _Z50ncclDevFunc_Reduce_RING_SIMPLE_SumPostDiv_u8_0_0_1v@rel32@hi+12
	s_mov_b64 s[4:5], s[48:49]
	s_mov_b64 s[6:7], s[38:39]
	;; [unrolled: 1-line block ×3, first 2 shown]
	s_mov_b32 s12, s51
	s_mov_b32 s13, s50
	;; [unrolled: 1-line block ×3, first 2 shown]
	s_swappc_b64 s[30:31], s[16:17]
	s_mov_b32 s4, 0
.LBB0_429:                              ;   in Loop: Header=BB0_90 Depth=1
	s_andn2_b32 vcc_lo, exec_lo, s4
	s_cbranch_vccnz .LBB0_431
; %bb.430:                              ;   in Loop: Header=BB0_90 Depth=1
	v_mov_b32_e32 v31, v40
	s_add_u32 s8, s36, 0x1000
	s_addc_u32 s9, s37, 0
	s_getpc_b64 s[16:17]
	s_add_u32 s16, s16, _Z53ncclDevFunc_Reduce_RING_SIMPLE_PreMulSum_f8e5m2_0_0_1v@rel32@lo+4
	s_addc_u32 s17, s17, _Z53ncclDevFunc_Reduce_RING_SIMPLE_PreMulSum_f8e5m2_0_0_1v@rel32@hi+12
	s_mov_b64 s[4:5], s[48:49]
	s_mov_b64 s[6:7], s[38:39]
	;; [unrolled: 1-line block ×3, first 2 shown]
	s_mov_b32 s12, s51
	s_mov_b32 s13, s50
	;; [unrolled: 1-line block ×3, first 2 shown]
	s_swappc_b64 s[30:31], s[16:17]
.LBB0_431:                              ;   in Loop: Header=BB0_90 Depth=1
	s_mov_b32 s4, 0
.LBB0_432:                              ;   in Loop: Header=BB0_90 Depth=1
	s_andn2_b32 vcc_lo, exec_lo, s4
	s_cbranch_vccnz .LBB0_434
; %bb.433:                              ;   in Loop: Header=BB0_90 Depth=1
	v_mov_b32_e32 v31, v40
	s_add_u32 s8, s36, 0x1000
	s_addc_u32 s9, s37, 0
	s_getpc_b64 s[16:17]
	s_add_u32 s16, s16, _Z53ncclDevFunc_Reduce_RING_SIMPLE_PreMulSum_f8e4m3_0_0_1v@rel32@lo+4
	s_addc_u32 s17, s17, _Z53ncclDevFunc_Reduce_RING_SIMPLE_PreMulSum_f8e4m3_0_0_1v@rel32@hi+12
	s_mov_b64 s[4:5], s[48:49]
	s_mov_b64 s[6:7], s[38:39]
	;; [unrolled: 1-line block ×3, first 2 shown]
	s_mov_b32 s12, s51
	s_mov_b32 s13, s50
	;; [unrolled: 1-line block ×3, first 2 shown]
	s_swappc_b64 s[30:31], s[16:17]
.LBB0_434:                              ;   in Loop: Header=BB0_90 Depth=1
	s_mov_b32 s4, 0
.LBB0_435:                              ;   in Loop: Header=BB0_90 Depth=1
	s_and_b32 vcc_lo, exec_lo, s4
	s_cbranch_vccz .LBB0_444
; %bb.436:                              ;   in Loop: Header=BB0_90 Depth=1
	s_sext_i32_i16 s4, s64
	s_cmp_lt_i32 s4, 39
	s_mov_b32 s4, -1
	s_cbranch_scc1 .LBB0_442
; %bb.437:                              ;   in Loop: Header=BB0_90 Depth=1
	s_cmp_lg_u32 s65, 39
	s_cbranch_scc0 .LBB0_439
; %bb.438:                              ;   in Loop: Header=BB0_90 Depth=1
	v_mov_b32_e32 v31, v40
	s_add_u32 s8, s36, 0x1000
	s_addc_u32 s9, s37, 0
	s_getpc_b64 s[16:17]
	s_add_u32 s16, s16, _Z51ncclDevFunc_Reduce_RING_SIMPLE_PreMulSum_bf16_0_1_1v@rel32@lo+4
	s_addc_u32 s17, s17, _Z51ncclDevFunc_Reduce_RING_SIMPLE_PreMulSum_bf16_0_1_1v@rel32@hi+12
	s_mov_b64 s[4:5], s[48:49]
	s_mov_b64 s[6:7], s[38:39]
	;; [unrolled: 1-line block ×3, first 2 shown]
	s_mov_b32 s12, s51
	s_mov_b32 s13, s50
	;; [unrolled: 1-line block ×3, first 2 shown]
	s_swappc_b64 s[30:31], s[16:17]
	s_mov_b32 s4, 0
.LBB0_439:                              ;   in Loop: Header=BB0_90 Depth=1
	s_andn2_b32 vcc_lo, exec_lo, s4
	s_cbranch_vccnz .LBB0_441
; %bb.440:                              ;   in Loop: Header=BB0_90 Depth=1
	v_mov_b32_e32 v31, v40
	s_add_u32 s8, s36, 0x1000
	s_addc_u32 s9, s37, 0
	s_getpc_b64 s[16:17]
	s_add_u32 s16, s16, _Z51ncclDevFunc_Reduce_RING_SIMPLE_PreMulSum_bf16_0_0_1v@rel32@lo+4
	s_addc_u32 s17, s17, _Z51ncclDevFunc_Reduce_RING_SIMPLE_PreMulSum_bf16_0_0_1v@rel32@hi+12
	s_mov_b64 s[4:5], s[48:49]
	s_mov_b64 s[6:7], s[38:39]
	;; [unrolled: 1-line block ×3, first 2 shown]
	s_mov_b32 s12, s51
	s_mov_b32 s13, s50
	;; [unrolled: 1-line block ×3, first 2 shown]
	s_swappc_b64 s[30:31], s[16:17]
.LBB0_441:                              ;   in Loop: Header=BB0_90 Depth=1
	s_mov_b32 s4, 0
.LBB0_442:                              ;   in Loop: Header=BB0_90 Depth=1
	s_andn2_b32 vcc_lo, exec_lo, s4
	s_cbranch_vccnz .LBB0_444
; %bb.443:                              ;   in Loop: Header=BB0_90 Depth=1
	v_mov_b32_e32 v31, v40
	s_add_u32 s8, s36, 0x1000
	s_addc_u32 s9, s37, 0
	s_getpc_b64 s[16:17]
	s_add_u32 s16, s16, _Z50ncclDevFunc_Reduce_RING_SIMPLE_PreMulSum_f64_0_0_1v@rel32@lo+4
	s_addc_u32 s17, s17, _Z50ncclDevFunc_Reduce_RING_SIMPLE_PreMulSum_f64_0_0_1v@rel32@hi+12
	s_mov_b64 s[4:5], s[48:49]
	s_mov_b64 s[6:7], s[38:39]
	;; [unrolled: 1-line block ×3, first 2 shown]
	s_mov_b32 s12, s51
	s_mov_b32 s13, s50
	;; [unrolled: 1-line block ×3, first 2 shown]
	s_swappc_b64 s[30:31], s[16:17]
.LBB0_444:                              ;   in Loop: Header=BB0_90 Depth=1
	s_mov_b32 s4, 0
.LBB0_445:                              ;   in Loop: Header=BB0_90 Depth=1
	s_andn2_b32 vcc_lo, exec_lo, s4
	s_cbranch_vccnz .LBB0_461
; %bb.446:                              ;   in Loop: Header=BB0_90 Depth=1
	s_cmp_gt_u32 s65, 34
	s_mov_b32 s4, -1
	s_cbranch_scc0 .LBB0_456
; %bb.447:                              ;   in Loop: Header=BB0_90 Depth=1
	s_sext_i32_i16 s4, s64
	s_cmp_lt_i32 s4, 36
	s_mov_b32 s4, -1
	s_cbranch_scc1 .LBB0_453
; %bb.448:                              ;   in Loop: Header=BB0_90 Depth=1
	s_cmp_lg_u32 s65, 36
	s_cbranch_scc0 .LBB0_450
; %bb.449:                              ;   in Loop: Header=BB0_90 Depth=1
	v_mov_b32_e32 v31, v40
	s_add_u32 s8, s36, 0x1000
	s_addc_u32 s9, s37, 0
	s_getpc_b64 s[16:17]
	s_add_u32 s16, s16, _Z50ncclDevFunc_Reduce_RING_SIMPLE_PreMulSum_f32_0_0_1v@rel32@lo+4
	s_addc_u32 s17, s17, _Z50ncclDevFunc_Reduce_RING_SIMPLE_PreMulSum_f32_0_0_1v@rel32@hi+12
	s_mov_b64 s[4:5], s[48:49]
	s_mov_b64 s[6:7], s[38:39]
	;; [unrolled: 1-line block ×3, first 2 shown]
	s_mov_b32 s12, s51
	s_mov_b32 s13, s50
	;; [unrolled: 1-line block ×3, first 2 shown]
	s_swappc_b64 s[30:31], s[16:17]
	s_mov_b32 s4, 0
.LBB0_450:                              ;   in Loop: Header=BB0_90 Depth=1
	s_andn2_b32 vcc_lo, exec_lo, s4
	s_cbranch_vccnz .LBB0_452
; %bb.451:                              ;   in Loop: Header=BB0_90 Depth=1
	v_mov_b32_e32 v31, v40
	s_add_u32 s8, s36, 0x1000
	s_addc_u32 s9, s37, 0
	s_getpc_b64 s[16:17]
	s_add_u32 s16, s16, _Z50ncclDevFunc_Reduce_RING_SIMPLE_PreMulSum_f16_0_0_1v@rel32@lo+4
	s_addc_u32 s17, s17, _Z50ncclDevFunc_Reduce_RING_SIMPLE_PreMulSum_f16_0_0_1v@rel32@hi+12
	s_mov_b64 s[4:5], s[48:49]
	s_mov_b64 s[6:7], s[38:39]
	;; [unrolled: 1-line block ×3, first 2 shown]
	s_mov_b32 s12, s51
	s_mov_b32 s13, s50
	;; [unrolled: 1-line block ×3, first 2 shown]
	s_swappc_b64 s[30:31], s[16:17]
.LBB0_452:                              ;   in Loop: Header=BB0_90 Depth=1
	s_mov_b32 s4, 0
.LBB0_453:                              ;   in Loop: Header=BB0_90 Depth=1
	s_andn2_b32 vcc_lo, exec_lo, s4
	s_cbranch_vccnz .LBB0_455
; %bb.454:                              ;   in Loop: Header=BB0_90 Depth=1
	v_mov_b32_e32 v31, v40
	s_add_u32 s8, s36, 0x1000
	s_addc_u32 s9, s37, 0
	s_getpc_b64 s[16:17]
	s_add_u32 s16, s16, _Z50ncclDevFunc_Reduce_RING_SIMPLE_PreMulSum_u64_0_0_1v@rel32@lo+4
	s_addc_u32 s17, s17, _Z50ncclDevFunc_Reduce_RING_SIMPLE_PreMulSum_u64_0_0_1v@rel32@hi+12
	s_mov_b64 s[4:5], s[48:49]
	s_mov_b64 s[6:7], s[38:39]
	;; [unrolled: 1-line block ×3, first 2 shown]
	s_mov_b32 s12, s51
	s_mov_b32 s13, s50
	;; [unrolled: 1-line block ×3, first 2 shown]
	s_swappc_b64 s[30:31], s[16:17]
.LBB0_455:                              ;   in Loop: Header=BB0_90 Depth=1
	s_mov_b32 s4, 0
.LBB0_456:                              ;   in Loop: Header=BB0_90 Depth=1
	s_and_b32 vcc_lo, exec_lo, s4
	s_cbranch_vccz .LBB0_461
; %bb.457:                              ;   in Loop: Header=BB0_90 Depth=1
	s_cmp_eq_u32 s65, 34
	s_mov_b32 s4, -1
	s_cbranch_scc1 .LBB0_459
; %bb.458:                              ;   in Loop: Header=BB0_90 Depth=1
	v_mov_b32_e32 v31, v40
	s_add_u32 s8, s36, 0x1000
	s_addc_u32 s9, s37, 0
	s_getpc_b64 s[16:17]
	s_add_u32 s16, s16, _Z49ncclDevFunc_Reduce_RING_SIMPLE_PreMulSum_u8_0_0_1v@rel32@lo+4
	s_addc_u32 s17, s17, _Z49ncclDevFunc_Reduce_RING_SIMPLE_PreMulSum_u8_0_0_1v@rel32@hi+12
	s_mov_b64 s[4:5], s[48:49]
	s_mov_b64 s[6:7], s[38:39]
	;; [unrolled: 1-line block ×3, first 2 shown]
	s_mov_b32 s12, s51
	s_mov_b32 s13, s50
	;; [unrolled: 1-line block ×3, first 2 shown]
	s_swappc_b64 s[30:31], s[16:17]
	s_mov_b32 s4, 0
.LBB0_459:                              ;   in Loop: Header=BB0_90 Depth=1
	s_andn2_b32 vcc_lo, exec_lo, s4
	s_cbranch_vccnz .LBB0_461
; %bb.460:                              ;   in Loop: Header=BB0_90 Depth=1
	v_mov_b32_e32 v31, v40
	s_add_u32 s8, s36, 0x1000
	s_addc_u32 s9, s37, 0
	s_getpc_b64 s[16:17]
	s_add_u32 s16, s16, _Z50ncclDevFunc_Reduce_RING_SIMPLE_PreMulSum_u32_0_0_1v@rel32@lo+4
	s_addc_u32 s17, s17, _Z50ncclDevFunc_Reduce_RING_SIMPLE_PreMulSum_u32_0_0_1v@rel32@hi+12
	s_mov_b64 s[4:5], s[48:49]
	s_mov_b64 s[6:7], s[38:39]
	;; [unrolled: 1-line block ×3, first 2 shown]
	s_mov_b32 s12, s51
	s_mov_b32 s13, s50
	;; [unrolled: 1-line block ×3, first 2 shown]
	s_swappc_b64 s[30:31], s[16:17]
.LBB0_461:                              ;   in Loop: Header=BB0_90 Depth=1
	s_mov_b32 s4, 0
.LBB0_462:                              ;   in Loop: Header=BB0_90 Depth=1
	s_andn2_b32 vcc_lo, exec_lo, s4
	s_cbranch_vccnz .LBB0_500
; %bb.463:                              ;   in Loop: Header=BB0_90 Depth=1
	s_cmp_gt_u32 s65, 26
	s_mov_b32 s4, -1
	s_cbranch_scc0 .LBB0_484
; %bb.464:                              ;   in Loop: Header=BB0_90 Depth=1
	s_cmp_gt_u32 s65, 29
	s_cbranch_scc0 .LBB0_474
; %bb.465:                              ;   in Loop: Header=BB0_90 Depth=1
	s_sext_i32_i16 s4, s64
	s_cmp_lt_i32 s4, 31
	s_mov_b32 s4, -1
	s_cbranch_scc1 .LBB0_471
; %bb.466:                              ;   in Loop: Header=BB0_90 Depth=1
	s_cmp_lg_u32 s65, 31
	s_cbranch_scc0 .LBB0_468
; %bb.467:                              ;   in Loop: Header=BB0_90 Depth=1
	v_mov_b32_e32 v31, v40
	s_add_u32 s8, s36, 0x1000
	s_addc_u32 s9, s37, 0
	s_getpc_b64 s[16:17]
	s_add_u32 s16, s16, _Z50ncclDevFunc_Reduce_RING_SIMPLE_MinMax_f8e5m2_0_0_1v@rel32@lo+4
	s_addc_u32 s17, s17, _Z50ncclDevFunc_Reduce_RING_SIMPLE_MinMax_f8e5m2_0_0_1v@rel32@hi+12
	s_mov_b64 s[4:5], s[48:49]
	s_mov_b64 s[6:7], s[38:39]
	s_mov_b64 s[10:11], s[34:35]
	s_mov_b32 s12, s51
	s_mov_b32 s13, s50
	;; [unrolled: 1-line block ×3, first 2 shown]
	s_swappc_b64 s[30:31], s[16:17]
	s_mov_b32 s4, 0
.LBB0_468:                              ;   in Loop: Header=BB0_90 Depth=1
	s_andn2_b32 vcc_lo, exec_lo, s4
	s_cbranch_vccnz .LBB0_470
; %bb.469:                              ;   in Loop: Header=BB0_90 Depth=1
	v_mov_b32_e32 v31, v40
	s_add_u32 s8, s36, 0x1000
	s_addc_u32 s9, s37, 0
	s_getpc_b64 s[16:17]
	s_add_u32 s16, s16, _Z50ncclDevFunc_Reduce_RING_SIMPLE_MinMax_f8e4m3_0_0_1v@rel32@lo+4
	s_addc_u32 s17, s17, _Z50ncclDevFunc_Reduce_RING_SIMPLE_MinMax_f8e4m3_0_0_1v@rel32@hi+12
	s_mov_b64 s[4:5], s[48:49]
	s_mov_b64 s[6:7], s[38:39]
	;; [unrolled: 1-line block ×3, first 2 shown]
	s_mov_b32 s12, s51
	s_mov_b32 s13, s50
	;; [unrolled: 1-line block ×3, first 2 shown]
	s_swappc_b64 s[30:31], s[16:17]
.LBB0_470:                              ;   in Loop: Header=BB0_90 Depth=1
	s_mov_b32 s4, 0
.LBB0_471:                              ;   in Loop: Header=BB0_90 Depth=1
	s_andn2_b32 vcc_lo, exec_lo, s4
	s_cbranch_vccnz .LBB0_473
; %bb.472:                              ;   in Loop: Header=BB0_90 Depth=1
	v_mov_b32_e32 v31, v40
	s_add_u32 s8, s36, 0x1000
	s_addc_u32 s9, s37, 0
	s_getpc_b64 s[16:17]
	s_add_u32 s16, s16, _Z48ncclDevFunc_Reduce_RING_SIMPLE_MinMax_bf16_0_1_1v@rel32@lo+4
	s_addc_u32 s17, s17, _Z48ncclDevFunc_Reduce_RING_SIMPLE_MinMax_bf16_0_1_1v@rel32@hi+12
	s_mov_b64 s[4:5], s[48:49]
	s_mov_b64 s[6:7], s[38:39]
	;; [unrolled: 1-line block ×3, first 2 shown]
	s_mov_b32 s12, s51
	s_mov_b32 s13, s50
	;; [unrolled: 1-line block ×3, first 2 shown]
	s_swappc_b64 s[30:31], s[16:17]
.LBB0_473:                              ;   in Loop: Header=BB0_90 Depth=1
	s_mov_b32 s4, 0
.LBB0_474:                              ;   in Loop: Header=BB0_90 Depth=1
	s_and_b32 vcc_lo, exec_lo, s4
	s_cbranch_vccz .LBB0_483
; %bb.475:                              ;   in Loop: Header=BB0_90 Depth=1
	s_sext_i32_i16 s4, s64
	s_cmp_lt_i32 s4, 28
	s_mov_b32 s4, -1
	s_cbranch_scc1 .LBB0_481
; %bb.476:                              ;   in Loop: Header=BB0_90 Depth=1
	s_cmp_lg_u32 s65, 28
	s_cbranch_scc0 .LBB0_478
; %bb.477:                              ;   in Loop: Header=BB0_90 Depth=1
	v_mov_b32_e32 v31, v40
	s_add_u32 s8, s36, 0x1000
	s_addc_u32 s9, s37, 0
	s_getpc_b64 s[16:17]
	s_add_u32 s16, s16, _Z48ncclDevFunc_Reduce_RING_SIMPLE_MinMax_bf16_0_0_1v@rel32@lo+4
	s_addc_u32 s17, s17, _Z48ncclDevFunc_Reduce_RING_SIMPLE_MinMax_bf16_0_0_1v@rel32@hi+12
	s_mov_b64 s[4:5], s[48:49]
	s_mov_b64 s[6:7], s[38:39]
	;; [unrolled: 1-line block ×3, first 2 shown]
	s_mov_b32 s12, s51
	s_mov_b32 s13, s50
	;; [unrolled: 1-line block ×3, first 2 shown]
	s_swappc_b64 s[30:31], s[16:17]
	s_mov_b32 s4, 0
.LBB0_478:                              ;   in Loop: Header=BB0_90 Depth=1
	s_andn2_b32 vcc_lo, exec_lo, s4
	s_cbranch_vccnz .LBB0_480
; %bb.479:                              ;   in Loop: Header=BB0_90 Depth=1
	v_mov_b32_e32 v31, v40
	s_add_u32 s8, s36, 0x1000
	s_addc_u32 s9, s37, 0
	s_getpc_b64 s[16:17]
	s_add_u32 s16, s16, _Z47ncclDevFunc_Reduce_RING_SIMPLE_MinMax_f64_0_0_1v@rel32@lo+4
	s_addc_u32 s17, s17, _Z47ncclDevFunc_Reduce_RING_SIMPLE_MinMax_f64_0_0_1v@rel32@hi+12
	s_mov_b64 s[4:5], s[48:49]
	s_mov_b64 s[6:7], s[38:39]
	;; [unrolled: 1-line block ×3, first 2 shown]
	s_mov_b32 s12, s51
	s_mov_b32 s13, s50
	;; [unrolled: 1-line block ×3, first 2 shown]
	s_swappc_b64 s[30:31], s[16:17]
.LBB0_480:                              ;   in Loop: Header=BB0_90 Depth=1
	s_mov_b32 s4, 0
.LBB0_481:                              ;   in Loop: Header=BB0_90 Depth=1
	s_andn2_b32 vcc_lo, exec_lo, s4
	s_cbranch_vccnz .LBB0_483
; %bb.482:                              ;   in Loop: Header=BB0_90 Depth=1
	v_mov_b32_e32 v31, v40
	s_add_u32 s8, s36, 0x1000
	s_addc_u32 s9, s37, 0
	s_getpc_b64 s[16:17]
	s_add_u32 s16, s16, _Z47ncclDevFunc_Reduce_RING_SIMPLE_MinMax_f32_0_0_1v@rel32@lo+4
	s_addc_u32 s17, s17, _Z47ncclDevFunc_Reduce_RING_SIMPLE_MinMax_f32_0_0_1v@rel32@hi+12
	s_mov_b64 s[4:5], s[48:49]
	s_mov_b64 s[6:7], s[38:39]
	s_mov_b64 s[10:11], s[34:35]
	s_mov_b32 s12, s51
	s_mov_b32 s13, s50
	s_mov_b32 s14, s33
	s_swappc_b64 s[30:31], s[16:17]
.LBB0_483:                              ;   in Loop: Header=BB0_90 Depth=1
	s_mov_b32 s4, 0
.LBB0_484:                              ;   in Loop: Header=BB0_90 Depth=1
	s_andn2_b32 vcc_lo, exec_lo, s4
	s_cbranch_vccnz .LBB0_500
; %bb.485:                              ;   in Loop: Header=BB0_90 Depth=1
	s_cmp_gt_u32 s65, 23
	s_mov_b32 s4, -1
	s_cbranch_scc0 .LBB0_495
; %bb.486:                              ;   in Loop: Header=BB0_90 Depth=1
	s_sext_i32_i16 s4, s64
	s_cmp_lt_i32 s4, 25
	s_mov_b32 s4, -1
	s_cbranch_scc1 .LBB0_492
; %bb.487:                              ;   in Loop: Header=BB0_90 Depth=1
	s_cmp_lg_u32 s65, 25
	s_cbranch_scc0 .LBB0_489
; %bb.488:                              ;   in Loop: Header=BB0_90 Depth=1
	v_mov_b32_e32 v31, v40
	s_add_u32 s8, s36, 0x1000
	s_addc_u32 s9, s37, 0
	s_getpc_b64 s[16:17]
	s_add_u32 s16, s16, _Z47ncclDevFunc_Reduce_RING_SIMPLE_MinMax_f16_0_0_1v@rel32@lo+4
	s_addc_u32 s17, s17, _Z47ncclDevFunc_Reduce_RING_SIMPLE_MinMax_f16_0_0_1v@rel32@hi+12
	s_mov_b64 s[4:5], s[48:49]
	s_mov_b64 s[6:7], s[38:39]
	;; [unrolled: 1-line block ×3, first 2 shown]
	s_mov_b32 s12, s51
	s_mov_b32 s13, s50
	;; [unrolled: 1-line block ×3, first 2 shown]
	s_swappc_b64 s[30:31], s[16:17]
	s_mov_b32 s4, 0
.LBB0_489:                              ;   in Loop: Header=BB0_90 Depth=1
	s_andn2_b32 vcc_lo, exec_lo, s4
	s_cbranch_vccnz .LBB0_491
; %bb.490:                              ;   in Loop: Header=BB0_90 Depth=1
	v_mov_b32_e32 v31, v40
	s_add_u32 s8, s36, 0x1000
	s_addc_u32 s9, s37, 0
	s_getpc_b64 s[16:17]
	s_add_u32 s16, s16, _Z47ncclDevFunc_Reduce_RING_SIMPLE_MinMax_u64_0_0_1v@rel32@lo+4
	s_addc_u32 s17, s17, _Z47ncclDevFunc_Reduce_RING_SIMPLE_MinMax_u64_0_0_1v@rel32@hi+12
	s_mov_b64 s[4:5], s[48:49]
	s_mov_b64 s[6:7], s[38:39]
	;; [unrolled: 1-line block ×3, first 2 shown]
	s_mov_b32 s12, s51
	s_mov_b32 s13, s50
	;; [unrolled: 1-line block ×3, first 2 shown]
	s_swappc_b64 s[30:31], s[16:17]
.LBB0_491:                              ;   in Loop: Header=BB0_90 Depth=1
	s_mov_b32 s4, 0
.LBB0_492:                              ;   in Loop: Header=BB0_90 Depth=1
	s_andn2_b32 vcc_lo, exec_lo, s4
	s_cbranch_vccnz .LBB0_494
; %bb.493:                              ;   in Loop: Header=BB0_90 Depth=1
	v_mov_b32_e32 v31, v40
	s_add_u32 s8, s36, 0x1000
	s_addc_u32 s9, s37, 0
	s_getpc_b64 s[16:17]
	s_add_u32 s16, s16, _Z47ncclDevFunc_Reduce_RING_SIMPLE_MinMax_u32_0_0_1v@rel32@lo+4
	s_addc_u32 s17, s17, _Z47ncclDevFunc_Reduce_RING_SIMPLE_MinMax_u32_0_0_1v@rel32@hi+12
	s_mov_b64 s[4:5], s[48:49]
	s_mov_b64 s[6:7], s[38:39]
	;; [unrolled: 1-line block ×3, first 2 shown]
	s_mov_b32 s12, s51
	s_mov_b32 s13, s50
	;; [unrolled: 1-line block ×3, first 2 shown]
	s_swappc_b64 s[30:31], s[16:17]
.LBB0_494:                              ;   in Loop: Header=BB0_90 Depth=1
	s_mov_b32 s4, 0
.LBB0_495:                              ;   in Loop: Header=BB0_90 Depth=1
	s_and_b32 vcc_lo, exec_lo, s4
	s_cbranch_vccz .LBB0_500
; %bb.496:                              ;   in Loop: Header=BB0_90 Depth=1
	s_cmp_eq_u32 s65, 23
	s_mov_b32 s4, -1
	s_cbranch_scc1 .LBB0_498
; %bb.497:                              ;   in Loop: Header=BB0_90 Depth=1
	v_mov_b32_e32 v31, v40
	s_add_u32 s8, s36, 0x1000
	s_addc_u32 s9, s37, 0
	s_getpc_b64 s[16:17]
	s_add_u32 s16, s16, _Z48ncclDevFunc_Reduce_RING_SIMPLE_Prod_f8e5m2_0_0_1v@rel32@lo+4
	s_addc_u32 s17, s17, _Z48ncclDevFunc_Reduce_RING_SIMPLE_Prod_f8e5m2_0_0_1v@rel32@hi+12
	s_mov_b64 s[4:5], s[48:49]
	s_mov_b64 s[6:7], s[38:39]
	s_mov_b64 s[10:11], s[34:35]
	s_mov_b32 s12, s51
	s_mov_b32 s13, s50
	;; [unrolled: 1-line block ×3, first 2 shown]
	s_swappc_b64 s[30:31], s[16:17]
	s_mov_b32 s4, 0
.LBB0_498:                              ;   in Loop: Header=BB0_90 Depth=1
	s_andn2_b32 vcc_lo, exec_lo, s4
	s_cbranch_vccnz .LBB0_500
; %bb.499:                              ;   in Loop: Header=BB0_90 Depth=1
	v_mov_b32_e32 v31, v40
	s_add_u32 s8, s36, 0x1000
	s_addc_u32 s9, s37, 0
	s_getpc_b64 s[16:17]
	s_add_u32 s16, s16, _Z46ncclDevFunc_Reduce_RING_SIMPLE_MinMax_u8_0_0_1v@rel32@lo+4
	s_addc_u32 s17, s17, _Z46ncclDevFunc_Reduce_RING_SIMPLE_MinMax_u8_0_0_1v@rel32@hi+12
	s_mov_b64 s[4:5], s[48:49]
	s_mov_b64 s[6:7], s[38:39]
	;; [unrolled: 1-line block ×3, first 2 shown]
	s_mov_b32 s12, s51
	s_mov_b32 s13, s50
	;; [unrolled: 1-line block ×3, first 2 shown]
	s_swappc_b64 s[30:31], s[16:17]
.LBB0_500:                              ;   in Loop: Header=BB0_90 Depth=1
	s_mov_b32 s4, 0
.LBB0_501:                              ;   in Loop: Header=BB0_90 Depth=1
	s_andn2_b32 vcc_lo, exec_lo, s4
	s_cbranch_vccnz .LBB0_576
; %bb.502:                              ;   in Loop: Header=BB0_90 Depth=1
	s_cmp_gt_u32 s65, 10
	s_mov_b32 s4, -1
	s_cbranch_scc0 .LBB0_541
; %bb.503:                              ;   in Loop: Header=BB0_90 Depth=1
	s_cmp_gt_u32 s65, 15
	s_cbranch_scc0 .LBB0_524
; %bb.504:                              ;   in Loop: Header=BB0_90 Depth=1
	s_cmp_gt_u32 s65, 18
	s_cbranch_scc0 .LBB0_514
; %bb.505:                              ;   in Loop: Header=BB0_90 Depth=1
	s_sext_i32_i16 s4, s64
	s_cmp_lt_i32 s4, 20
	s_mov_b32 s4, -1
	s_cbranch_scc1 .LBB0_511
; %bb.506:                              ;   in Loop: Header=BB0_90 Depth=1
	s_cmp_lg_u32 s65, 20
	s_cbranch_scc0 .LBB0_508
; %bb.507:                              ;   in Loop: Header=BB0_90 Depth=1
	v_mov_b32_e32 v31, v40
	s_add_u32 s8, s36, 0x1000
	s_addc_u32 s9, s37, 0
	s_getpc_b64 s[16:17]
	s_add_u32 s16, s16, _Z48ncclDevFunc_Reduce_RING_SIMPLE_Prod_f8e4m3_0_0_1v@rel32@lo+4
	s_addc_u32 s17, s17, _Z48ncclDevFunc_Reduce_RING_SIMPLE_Prod_f8e4m3_0_0_1v@rel32@hi+12
	s_mov_b64 s[4:5], s[48:49]
	s_mov_b64 s[6:7], s[38:39]
	;; [unrolled: 1-line block ×3, first 2 shown]
	s_mov_b32 s12, s51
	s_mov_b32 s13, s50
	;; [unrolled: 1-line block ×3, first 2 shown]
	s_swappc_b64 s[30:31], s[16:17]
	s_mov_b32 s4, 0
.LBB0_508:                              ;   in Loop: Header=BB0_90 Depth=1
	s_andn2_b32 vcc_lo, exec_lo, s4
	s_cbranch_vccnz .LBB0_510
; %bb.509:                              ;   in Loop: Header=BB0_90 Depth=1
	v_mov_b32_e32 v31, v40
	s_add_u32 s8, s36, 0x1000
	s_addc_u32 s9, s37, 0
	s_getpc_b64 s[16:17]
	s_add_u32 s16, s16, _Z46ncclDevFunc_Reduce_RING_SIMPLE_Prod_bf16_0_1_1v@rel32@lo+4
	s_addc_u32 s17, s17, _Z46ncclDevFunc_Reduce_RING_SIMPLE_Prod_bf16_0_1_1v@rel32@hi+12
	s_mov_b64 s[4:5], s[48:49]
	s_mov_b64 s[6:7], s[38:39]
	;; [unrolled: 1-line block ×3, first 2 shown]
	s_mov_b32 s12, s51
	s_mov_b32 s13, s50
	;; [unrolled: 1-line block ×3, first 2 shown]
	s_swappc_b64 s[30:31], s[16:17]
.LBB0_510:                              ;   in Loop: Header=BB0_90 Depth=1
	s_mov_b32 s4, 0
.LBB0_511:                              ;   in Loop: Header=BB0_90 Depth=1
	s_andn2_b32 vcc_lo, exec_lo, s4
	s_cbranch_vccnz .LBB0_513
; %bb.512:                              ;   in Loop: Header=BB0_90 Depth=1
	v_mov_b32_e32 v31, v40
	s_add_u32 s8, s36, 0x1000
	s_addc_u32 s9, s37, 0
	s_getpc_b64 s[16:17]
	s_add_u32 s16, s16, _Z46ncclDevFunc_Reduce_RING_SIMPLE_Prod_bf16_0_0_1v@rel32@lo+4
	s_addc_u32 s17, s17, _Z46ncclDevFunc_Reduce_RING_SIMPLE_Prod_bf16_0_0_1v@rel32@hi+12
	s_mov_b64 s[4:5], s[48:49]
	s_mov_b64 s[6:7], s[38:39]
	;; [unrolled: 1-line block ×3, first 2 shown]
	s_mov_b32 s12, s51
	s_mov_b32 s13, s50
	;; [unrolled: 1-line block ×3, first 2 shown]
	s_swappc_b64 s[30:31], s[16:17]
.LBB0_513:                              ;   in Loop: Header=BB0_90 Depth=1
	s_mov_b32 s4, 0
.LBB0_514:                              ;   in Loop: Header=BB0_90 Depth=1
	s_and_b32 vcc_lo, exec_lo, s4
	s_cbranch_vccz .LBB0_523
; %bb.515:                              ;   in Loop: Header=BB0_90 Depth=1
	s_sext_i32_i16 s4, s64
	s_cmp_lt_i32 s4, 17
	s_mov_b32 s4, -1
	s_cbranch_scc1 .LBB0_521
; %bb.516:                              ;   in Loop: Header=BB0_90 Depth=1
	s_cmp_lg_u32 s65, 17
	s_cbranch_scc0 .LBB0_518
; %bb.517:                              ;   in Loop: Header=BB0_90 Depth=1
	v_mov_b32_e32 v31, v40
	s_add_u32 s8, s36, 0x1000
	s_addc_u32 s9, s37, 0
	s_getpc_b64 s[16:17]
	s_add_u32 s16, s16, _Z45ncclDevFunc_Reduce_RING_SIMPLE_Prod_f64_0_0_1v@rel32@lo+4
	s_addc_u32 s17, s17, _Z45ncclDevFunc_Reduce_RING_SIMPLE_Prod_f64_0_0_1v@rel32@hi+12
	s_mov_b64 s[4:5], s[48:49]
	s_mov_b64 s[6:7], s[38:39]
	;; [unrolled: 1-line block ×3, first 2 shown]
	s_mov_b32 s12, s51
	s_mov_b32 s13, s50
	;; [unrolled: 1-line block ×3, first 2 shown]
	s_swappc_b64 s[30:31], s[16:17]
	s_mov_b32 s4, 0
.LBB0_518:                              ;   in Loop: Header=BB0_90 Depth=1
	s_andn2_b32 vcc_lo, exec_lo, s4
	s_cbranch_vccnz .LBB0_520
; %bb.519:                              ;   in Loop: Header=BB0_90 Depth=1
	v_mov_b32_e32 v31, v40
	s_add_u32 s8, s36, 0x1000
	s_addc_u32 s9, s37, 0
	s_getpc_b64 s[16:17]
	s_add_u32 s16, s16, _Z45ncclDevFunc_Reduce_RING_SIMPLE_Prod_f32_0_0_1v@rel32@lo+4
	s_addc_u32 s17, s17, _Z45ncclDevFunc_Reduce_RING_SIMPLE_Prod_f32_0_0_1v@rel32@hi+12
	s_mov_b64 s[4:5], s[48:49]
	s_mov_b64 s[6:7], s[38:39]
	;; [unrolled: 1-line block ×3, first 2 shown]
	s_mov_b32 s12, s51
	s_mov_b32 s13, s50
	;; [unrolled: 1-line block ×3, first 2 shown]
	s_swappc_b64 s[30:31], s[16:17]
.LBB0_520:                              ;   in Loop: Header=BB0_90 Depth=1
	s_mov_b32 s4, 0
.LBB0_521:                              ;   in Loop: Header=BB0_90 Depth=1
	s_andn2_b32 vcc_lo, exec_lo, s4
	s_cbranch_vccnz .LBB0_523
; %bb.522:                              ;   in Loop: Header=BB0_90 Depth=1
	v_mov_b32_e32 v31, v40
	s_add_u32 s8, s36, 0x1000
	s_addc_u32 s9, s37, 0
	s_getpc_b64 s[16:17]
	s_add_u32 s16, s16, _Z45ncclDevFunc_Reduce_RING_SIMPLE_Prod_f16_0_0_1v@rel32@lo+4
	s_addc_u32 s17, s17, _Z45ncclDevFunc_Reduce_RING_SIMPLE_Prod_f16_0_0_1v@rel32@hi+12
	s_mov_b64 s[4:5], s[48:49]
	s_mov_b64 s[6:7], s[38:39]
	;; [unrolled: 1-line block ×3, first 2 shown]
	s_mov_b32 s12, s51
	s_mov_b32 s13, s50
	;; [unrolled: 1-line block ×3, first 2 shown]
	s_swappc_b64 s[30:31], s[16:17]
.LBB0_523:                              ;   in Loop: Header=BB0_90 Depth=1
	s_mov_b32 s4, 0
.LBB0_524:                              ;   in Loop: Header=BB0_90 Depth=1
	s_andn2_b32 vcc_lo, exec_lo, s4
	s_cbranch_vccnz .LBB0_540
; %bb.525:                              ;   in Loop: Header=BB0_90 Depth=1
	s_cmp_gt_u32 s65, 12
	s_mov_b32 s4, -1
	s_cbranch_scc0 .LBB0_535
; %bb.526:                              ;   in Loop: Header=BB0_90 Depth=1
	s_sext_i32_i16 s4, s64
	s_cmp_lt_i32 s4, 14
	s_mov_b32 s4, -1
	s_cbranch_scc1 .LBB0_532
; %bb.527:                              ;   in Loop: Header=BB0_90 Depth=1
	s_cmp_lg_u32 s65, 14
	s_cbranch_scc0 .LBB0_529
; %bb.528:                              ;   in Loop: Header=BB0_90 Depth=1
	v_mov_b32_e32 v31, v40
	s_add_u32 s8, s36, 0x1000
	s_addc_u32 s9, s37, 0
	s_getpc_b64 s[16:17]
	s_add_u32 s16, s16, _Z45ncclDevFunc_Reduce_RING_SIMPLE_Prod_u64_0_0_1v@rel32@lo+4
	s_addc_u32 s17, s17, _Z45ncclDevFunc_Reduce_RING_SIMPLE_Prod_u64_0_0_1v@rel32@hi+12
	s_mov_b64 s[4:5], s[48:49]
	s_mov_b64 s[6:7], s[38:39]
	;; [unrolled: 1-line block ×3, first 2 shown]
	s_mov_b32 s12, s51
	s_mov_b32 s13, s50
	;; [unrolled: 1-line block ×3, first 2 shown]
	s_swappc_b64 s[30:31], s[16:17]
	s_mov_b32 s4, 0
.LBB0_529:                              ;   in Loop: Header=BB0_90 Depth=1
	s_andn2_b32 vcc_lo, exec_lo, s4
	s_cbranch_vccnz .LBB0_531
; %bb.530:                              ;   in Loop: Header=BB0_90 Depth=1
	v_mov_b32_e32 v31, v40
	s_add_u32 s8, s36, 0x1000
	s_addc_u32 s9, s37, 0
	s_getpc_b64 s[16:17]
	s_add_u32 s16, s16, _Z45ncclDevFunc_Reduce_RING_SIMPLE_Prod_u32_0_0_1v@rel32@lo+4
	s_addc_u32 s17, s17, _Z45ncclDevFunc_Reduce_RING_SIMPLE_Prod_u32_0_0_1v@rel32@hi+12
	s_mov_b64 s[4:5], s[48:49]
	s_mov_b64 s[6:7], s[38:39]
	;; [unrolled: 1-line block ×3, first 2 shown]
	s_mov_b32 s12, s51
	s_mov_b32 s13, s50
	;; [unrolled: 1-line block ×3, first 2 shown]
	s_swappc_b64 s[30:31], s[16:17]
.LBB0_531:                              ;   in Loop: Header=BB0_90 Depth=1
	s_mov_b32 s4, 0
.LBB0_532:                              ;   in Loop: Header=BB0_90 Depth=1
	s_andn2_b32 vcc_lo, exec_lo, s4
	s_cbranch_vccnz .LBB0_534
; %bb.533:                              ;   in Loop: Header=BB0_90 Depth=1
	v_mov_b32_e32 v31, v40
	s_add_u32 s8, s36, 0x1000
	s_addc_u32 s9, s37, 0
	s_getpc_b64 s[16:17]
	s_add_u32 s16, s16, _Z44ncclDevFunc_Reduce_RING_SIMPLE_Prod_u8_0_0_1v@rel32@lo+4
	s_addc_u32 s17, s17, _Z44ncclDevFunc_Reduce_RING_SIMPLE_Prod_u8_0_0_1v@rel32@hi+12
	s_mov_b64 s[4:5], s[48:49]
	s_mov_b64 s[6:7], s[38:39]
	;; [unrolled: 1-line block ×3, first 2 shown]
	s_mov_b32 s12, s51
	s_mov_b32 s13, s50
	;; [unrolled: 1-line block ×3, first 2 shown]
	s_swappc_b64 s[30:31], s[16:17]
.LBB0_534:                              ;   in Loop: Header=BB0_90 Depth=1
	s_mov_b32 s4, 0
.LBB0_535:                              ;   in Loop: Header=BB0_90 Depth=1
	s_and_b32 vcc_lo, exec_lo, s4
	s_cbranch_vccz .LBB0_540
; %bb.536:                              ;   in Loop: Header=BB0_90 Depth=1
	s_cmp_eq_u32 s65, 12
	s_mov_b32 s4, -1
	s_cbranch_scc1 .LBB0_538
; %bb.537:                              ;   in Loop: Header=BB0_90 Depth=1
	v_mov_b32_e32 v31, v40
	s_add_u32 s8, s36, 0x1000
	s_addc_u32 s9, s37, 0
	s_getpc_b64 s[16:17]
	s_add_u32 s16, s16, _Z47ncclDevFunc_Reduce_RING_SIMPLE_Sum_f8e4m3_0_0_1v@rel32@lo+4
	s_addc_u32 s17, s17, _Z47ncclDevFunc_Reduce_RING_SIMPLE_Sum_f8e4m3_0_0_1v@rel32@hi+12
	s_mov_b64 s[4:5], s[48:49]
	s_mov_b64 s[6:7], s[38:39]
	;; [unrolled: 1-line block ×3, first 2 shown]
	s_mov_b32 s12, s51
	s_mov_b32 s13, s50
	;; [unrolled: 1-line block ×3, first 2 shown]
	s_swappc_b64 s[30:31], s[16:17]
	s_mov_b32 s4, 0
.LBB0_538:                              ;   in Loop: Header=BB0_90 Depth=1
	s_andn2_b32 vcc_lo, exec_lo, s4
	s_cbranch_vccnz .LBB0_540
; %bb.539:                              ;   in Loop: Header=BB0_90 Depth=1
	v_mov_b32_e32 v31, v40
	s_add_u32 s8, s36, 0x1000
	s_addc_u32 s9, s37, 0
	s_getpc_b64 s[16:17]
	s_add_u32 s16, s16, _Z47ncclDevFunc_Reduce_RING_SIMPLE_Sum_f8e5m2_0_0_1v@rel32@lo+4
	s_addc_u32 s17, s17, _Z47ncclDevFunc_Reduce_RING_SIMPLE_Sum_f8e5m2_0_0_1v@rel32@hi+12
	s_mov_b64 s[4:5], s[48:49]
	s_mov_b64 s[6:7], s[38:39]
	s_mov_b64 s[10:11], s[34:35]
	s_mov_b32 s12, s51
	s_mov_b32 s13, s50
	;; [unrolled: 1-line block ×3, first 2 shown]
	s_swappc_b64 s[30:31], s[16:17]
.LBB0_540:                              ;   in Loop: Header=BB0_90 Depth=1
	s_mov_b32 s4, 0
.LBB0_541:                              ;   in Loop: Header=BB0_90 Depth=1
	s_andn2_b32 vcc_lo, exec_lo, s4
	s_cbranch_vccnz .LBB0_576
; %bb.542:                              ;   in Loop: Header=BB0_90 Depth=1
	s_cmp_gt_u32 s65, 4
	s_mov_b32 s4, -1
	s_cbranch_scc0 .LBB0_563
; %bb.543:                              ;   in Loop: Header=BB0_90 Depth=1
	s_cmp_gt_u32 s65, 7
	s_cbranch_scc0 .LBB0_553
; %bb.544:                              ;   in Loop: Header=BB0_90 Depth=1
	s_sext_i32_i16 s4, s64
	s_cmp_lt_i32 s4, 9
	s_mov_b32 s4, -1
	s_cbranch_scc1 .LBB0_550
; %bb.545:                              ;   in Loop: Header=BB0_90 Depth=1
	s_cmp_lg_u32 s65, 9
	s_cbranch_scc0 .LBB0_547
; %bb.546:                              ;   in Loop: Header=BB0_90 Depth=1
	v_mov_b32_e32 v31, v40
	s_add_u32 s8, s36, 0x1000
	s_addc_u32 s9, s37, 0
	s_getpc_b64 s[16:17]
	s_add_u32 s16, s16, _Z45ncclDevFunc_Reduce_RING_SIMPLE_Sum_bf16_0_1_1v@rel32@lo+4
	s_addc_u32 s17, s17, _Z45ncclDevFunc_Reduce_RING_SIMPLE_Sum_bf16_0_1_1v@rel32@hi+12
	s_mov_b64 s[4:5], s[48:49]
	s_mov_b64 s[6:7], s[38:39]
	;; [unrolled: 1-line block ×3, first 2 shown]
	s_mov_b32 s12, s51
	s_mov_b32 s13, s50
	s_mov_b32 s14, s33
	s_swappc_b64 s[30:31], s[16:17]
	s_mov_b32 s4, 0
.LBB0_547:                              ;   in Loop: Header=BB0_90 Depth=1
	s_andn2_b32 vcc_lo, exec_lo, s4
	s_cbranch_vccnz .LBB0_549
; %bb.548:                              ;   in Loop: Header=BB0_90 Depth=1
	v_mov_b32_e32 v31, v40
	s_add_u32 s8, s36, 0x1000
	s_addc_u32 s9, s37, 0
	s_getpc_b64 s[16:17]
	s_add_u32 s16, s16, _Z45ncclDevFunc_Reduce_RING_SIMPLE_Sum_bf16_0_0_1v@rel32@lo+4
	s_addc_u32 s17, s17, _Z45ncclDevFunc_Reduce_RING_SIMPLE_Sum_bf16_0_0_1v@rel32@hi+12
	s_mov_b64 s[4:5], s[48:49]
	s_mov_b64 s[6:7], s[38:39]
	;; [unrolled: 1-line block ×3, first 2 shown]
	s_mov_b32 s12, s51
	s_mov_b32 s13, s50
	;; [unrolled: 1-line block ×3, first 2 shown]
	s_swappc_b64 s[30:31], s[16:17]
.LBB0_549:                              ;   in Loop: Header=BB0_90 Depth=1
	s_mov_b32 s4, 0
.LBB0_550:                              ;   in Loop: Header=BB0_90 Depth=1
	s_andn2_b32 vcc_lo, exec_lo, s4
	s_cbranch_vccnz .LBB0_552
; %bb.551:                              ;   in Loop: Header=BB0_90 Depth=1
	v_mov_b32_e32 v31, v40
	s_add_u32 s8, s36, 0x1000
	s_addc_u32 s9, s37, 0
	s_getpc_b64 s[16:17]
	s_add_u32 s16, s16, _Z44ncclDevFunc_Reduce_RING_SIMPLE_Sum_f64_0_0_1v@rel32@lo+4
	s_addc_u32 s17, s17, _Z44ncclDevFunc_Reduce_RING_SIMPLE_Sum_f64_0_0_1v@rel32@hi+12
	s_mov_b64 s[4:5], s[48:49]
	s_mov_b64 s[6:7], s[38:39]
	;; [unrolled: 1-line block ×3, first 2 shown]
	s_mov_b32 s12, s51
	s_mov_b32 s13, s50
	;; [unrolled: 1-line block ×3, first 2 shown]
	s_swappc_b64 s[30:31], s[16:17]
.LBB0_552:                              ;   in Loop: Header=BB0_90 Depth=1
	s_mov_b32 s4, 0
.LBB0_553:                              ;   in Loop: Header=BB0_90 Depth=1
	s_and_b32 vcc_lo, exec_lo, s4
	s_cbranch_vccz .LBB0_562
; %bb.554:                              ;   in Loop: Header=BB0_90 Depth=1
	s_sext_i32_i16 s4, s64
	s_cmp_lt_i32 s4, 6
	s_mov_b32 s4, -1
	s_cbranch_scc1 .LBB0_560
; %bb.555:                              ;   in Loop: Header=BB0_90 Depth=1
	s_cmp_lg_u32 s65, 6
	s_cbranch_scc0 .LBB0_557
; %bb.556:                              ;   in Loop: Header=BB0_90 Depth=1
	v_mov_b32_e32 v31, v40
	s_add_u32 s8, s36, 0x1000
	s_addc_u32 s9, s37, 0
	s_getpc_b64 s[16:17]
	s_add_u32 s16, s16, _Z44ncclDevFunc_Reduce_RING_SIMPLE_Sum_f32_0_0_1v@rel32@lo+4
	s_addc_u32 s17, s17, _Z44ncclDevFunc_Reduce_RING_SIMPLE_Sum_f32_0_0_1v@rel32@hi+12
	s_mov_b64 s[4:5], s[48:49]
	s_mov_b64 s[6:7], s[38:39]
	;; [unrolled: 1-line block ×3, first 2 shown]
	s_mov_b32 s12, s51
	s_mov_b32 s13, s50
	;; [unrolled: 1-line block ×3, first 2 shown]
	s_swappc_b64 s[30:31], s[16:17]
	s_mov_b32 s4, 0
.LBB0_557:                              ;   in Loop: Header=BB0_90 Depth=1
	s_andn2_b32 vcc_lo, exec_lo, s4
	s_cbranch_vccnz .LBB0_559
; %bb.558:                              ;   in Loop: Header=BB0_90 Depth=1
	v_mov_b32_e32 v31, v40
	s_add_u32 s8, s36, 0x1000
	s_addc_u32 s9, s37, 0
	s_getpc_b64 s[16:17]
	s_add_u32 s16, s16, _Z44ncclDevFunc_Reduce_RING_SIMPLE_Sum_f16_0_0_1v@rel32@lo+4
	s_addc_u32 s17, s17, _Z44ncclDevFunc_Reduce_RING_SIMPLE_Sum_f16_0_0_1v@rel32@hi+12
	s_mov_b64 s[4:5], s[48:49]
	s_mov_b64 s[6:7], s[38:39]
	;; [unrolled: 1-line block ×3, first 2 shown]
	s_mov_b32 s12, s51
	s_mov_b32 s13, s50
	;; [unrolled: 1-line block ×3, first 2 shown]
	s_swappc_b64 s[30:31], s[16:17]
.LBB0_559:                              ;   in Loop: Header=BB0_90 Depth=1
	s_mov_b32 s4, 0
.LBB0_560:                              ;   in Loop: Header=BB0_90 Depth=1
	s_andn2_b32 vcc_lo, exec_lo, s4
	s_cbranch_vccnz .LBB0_562
; %bb.561:                              ;   in Loop: Header=BB0_90 Depth=1
	v_mov_b32_e32 v31, v40
	s_add_u32 s8, s36, 0x1000
	s_addc_u32 s9, s37, 0
	s_getpc_b64 s[16:17]
	s_add_u32 s16, s16, _Z44ncclDevFunc_Reduce_RING_SIMPLE_Sum_u64_0_0_1v@rel32@lo+4
	s_addc_u32 s17, s17, _Z44ncclDevFunc_Reduce_RING_SIMPLE_Sum_u64_0_0_1v@rel32@hi+12
	s_mov_b64 s[4:5], s[48:49]
	s_mov_b64 s[6:7], s[38:39]
	;; [unrolled: 1-line block ×3, first 2 shown]
	s_mov_b32 s12, s51
	s_mov_b32 s13, s50
	;; [unrolled: 1-line block ×3, first 2 shown]
	s_swappc_b64 s[30:31], s[16:17]
.LBB0_562:                              ;   in Loop: Header=BB0_90 Depth=1
	s_mov_b32 s4, 0
.LBB0_563:                              ;   in Loop: Header=BB0_90 Depth=1
	s_andn2_b32 vcc_lo, exec_lo, s4
	s_cbranch_vccnz .LBB0_576
; %bb.564:                              ;   in Loop: Header=BB0_90 Depth=1
	s_cmp_gt_u32 s65, 1
	s_mov_b32 s4, -1
	s_cbranch_scc0 .LBB0_574
; %bb.565:                              ;   in Loop: Header=BB0_90 Depth=1
	s_sext_i32_i16 s4, s64
	s_cmp_lt_i32 s4, 3
	s_mov_b32 s4, -1
	s_cbranch_scc1 .LBB0_571
; %bb.566:                              ;   in Loop: Header=BB0_90 Depth=1
	s_cmp_lg_u32 s65, 3
	s_cbranch_scc0 .LBB0_568
; %bb.567:                              ;   in Loop: Header=BB0_90 Depth=1
	v_mov_b32_e32 v31, v40
	s_add_u32 s8, s36, 0x1000
	s_addc_u32 s9, s37, 0
	s_getpc_b64 s[16:17]
	s_add_u32 s16, s16, _Z44ncclDevFunc_Reduce_RING_SIMPLE_Sum_u32_0_0_1v@rel32@lo+4
	s_addc_u32 s17, s17, _Z44ncclDevFunc_Reduce_RING_SIMPLE_Sum_u32_0_0_1v@rel32@hi+12
	s_mov_b64 s[4:5], s[48:49]
	s_mov_b64 s[6:7], s[38:39]
	;; [unrolled: 1-line block ×3, first 2 shown]
	s_mov_b32 s12, s51
	s_mov_b32 s13, s50
	;; [unrolled: 1-line block ×3, first 2 shown]
	s_swappc_b64 s[30:31], s[16:17]
	s_mov_b32 s4, 0
.LBB0_568:                              ;   in Loop: Header=BB0_90 Depth=1
	s_andn2_b32 vcc_lo, exec_lo, s4
	s_cbranch_vccnz .LBB0_570
; %bb.569:                              ;   in Loop: Header=BB0_90 Depth=1
	v_mov_b32_e32 v31, v40
	s_add_u32 s8, s36, 0x1000
	s_addc_u32 s9, s37, 0
	s_getpc_b64 s[16:17]
	s_add_u32 s16, s16, _Z43ncclDevFunc_Reduce_RING_SIMPLE_Sum_u8_0_0_1v@rel32@lo+4
	s_addc_u32 s17, s17, _Z43ncclDevFunc_Reduce_RING_SIMPLE_Sum_u8_0_0_1v@rel32@hi+12
	s_mov_b64 s[4:5], s[48:49]
	s_mov_b64 s[6:7], s[38:39]
	;; [unrolled: 1-line block ×3, first 2 shown]
	s_mov_b32 s12, s51
	s_mov_b32 s13, s50
	;; [unrolled: 1-line block ×3, first 2 shown]
	s_swappc_b64 s[30:31], s[16:17]
.LBB0_570:                              ;   in Loop: Header=BB0_90 Depth=1
	s_mov_b32 s4, 0
.LBB0_571:                              ;   in Loop: Header=BB0_90 Depth=1
	s_andn2_b32 vcc_lo, exec_lo, s4
	s_cbranch_vccnz .LBB0_573
; %bb.572:                              ;   in Loop: Header=BB0_90 Depth=1
	v_mov_b32_e32 v31, v40
	s_add_u32 s8, s36, 0x1000
	s_addc_u32 s9, s37, 0
	s_getpc_b64 s[16:17]
	s_add_u32 s16, s16, _Z46ncclDevFunc_Broadcast_RING_SIMPLE_Sum_i8_0_0_1v@rel32@lo+4
	s_addc_u32 s17, s17, _Z46ncclDevFunc_Broadcast_RING_SIMPLE_Sum_i8_0_0_1v@rel32@hi+12
	s_mov_b64 s[4:5], s[48:49]
	s_mov_b64 s[6:7], s[38:39]
	;; [unrolled: 1-line block ×3, first 2 shown]
	s_mov_b32 s12, s51
	s_mov_b32 s13, s50
	;; [unrolled: 1-line block ×3, first 2 shown]
	s_swappc_b64 s[30:31], s[16:17]
.LBB0_573:                              ;   in Loop: Header=BB0_90 Depth=1
	s_mov_b32 s4, 0
.LBB0_574:                              ;   in Loop: Header=BB0_90 Depth=1
	s_and_b32 vcc_lo, exec_lo, s4
	s_cbranch_vccz .LBB0_576
; %bb.575:                              ;   in Loop: Header=BB0_90 Depth=1
	v_mov_b32_e32 v31, v40
	s_add_u32 s8, s36, 0x1000
	s_addc_u32 s9, s37, 0
	s_getpc_b64 s[16:17]
	s_add_u32 s16, s16, _Z42ncclDevFunc_Broadcast_RING_LL_Sum_i8_0_0_1v@rel32@lo+4
	s_addc_u32 s17, s17, _Z42ncclDevFunc_Broadcast_RING_LL_Sum_i8_0_0_1v@rel32@hi+12
	s_mov_b64 s[4:5], s[48:49]
	s_mov_b64 s[6:7], s[38:39]
	;; [unrolled: 1-line block ×3, first 2 shown]
	s_mov_b32 s12, s51
	s_mov_b32 s13, s50
	;; [unrolled: 1-line block ×3, first 2 shown]
	s_swappc_b64 s[30:31], s[16:17]
.LBB0_576:                              ;   in Loop: Header=BB0_90 Depth=1
	ds_read_b32 v0, v41 offset:17060
	s_waitcnt lgkmcnt(0)
	v_cmp_eq_u32_e32 vcc_lo, -1, v0
	v_readfirstlane_b32 s6, v0
	s_cbranch_vccnz .LBB0_591
; %bb.577:                              ;   in Loop: Header=BB0_90 Depth=1
	s_waitcnt_vscnt null, 0x0
	s_barrier
	buffer_gl0_inv
	s_and_saveexec_b32 s4, s55
	s_cbranch_execz .LBB0_581
; %bb.578:                              ;   in Loop: Header=BB0_90 Depth=1
	s_and_saveexec_b32 s5, s53
; %bb.579:                              ;   in Loop: Header=BB0_90 Depth=1
	v_mov_b32_e32 v42, v41
	ds_write_b64 v41, v[41:42] offset:21208
; %bb.580:                              ;   in Loop: Header=BB0_90 Depth=1
	s_or_b32 exec_lo, exec_lo, s5
	v_mov_b32_e32 v42, v41
	ds_write_b64 v43, v[41:42]
.LBB0_581:                              ;   in Loop: Header=BB0_90 Depth=1
	s_or_b32 exec_lo, exec_lo, s4
	s_and_saveexec_b32 s4, s52
	s_cbranch_execz .LBB0_593
; %bb.582:                              ;   in Loop: Header=BB0_90 Depth=1
	ds_read_b32 v6, v41 offset:17068
	ds_read_b64 v[2:3], v41 offset:17040
	s_waitcnt lgkmcnt(1)
	v_ashrrev_i32_e32 v5, 31, v6
	s_waitcnt lgkmcnt(0)
	v_add_co_u32 v0, vcc_lo, v2, 1
	v_add_co_ci_u32_e64 v1, null, 0, v3, vcc_lo
	v_add_co_u32 v4, vcc_lo, v2, v6
	v_add_co_ci_u32_e64 v5, null, v3, v5, vcc_lo
	v_cmp_gt_u64_e32 vcc_lo, v[0:1], v[4:5]
	s_cbranch_vccnz .LBB0_592
; %bb.583:                              ;   in Loop: Header=BB0_90 Depth=1
	ds_read_u8 v7, v41 offset:17064
	s_movk_i32 s5, 0x4f0e
	s_movk_i32 s7, 0x4eda
	s_branch .LBB0_585
.LBB0_584:                              ;   in Loop: Header=BB0_585 Depth=2
	s_waitcnt lgkmcnt(0)
	v_ashrrev_i32_e32 v5, 31, v6
	v_add_co_u32 v0, vcc_lo, v0, 1
	v_add_co_ci_u32_e64 v1, null, 0, v1, vcc_lo
	v_add_co_u32 v4, vcc_lo, v2, v6
	v_add_co_ci_u32_e64 v5, null, v3, v5, vcc_lo
	s_add_i32 s5, s5, 64
	s_addk_i32 s7, 0x80
	v_cmp_le_u64_e32 vcc_lo, v[0:1], v[4:5]
	s_cbranch_vccz .LBB0_592
.LBB0_585:                              ;   Parent Loop BB0_90 Depth=1
                                        ; =>  This Inner Loop Header: Depth=2
	s_waitcnt lgkmcnt(0)
	v_cmp_ne_u32_sdwa s8, v7, v41 src0_sel:BYTE_0 src1_sel:DWORD
	s_and_b32 vcc_lo, exec_lo, s8
	s_cbranch_vccz .LBB0_590
; %bb.586:                              ;   in Loop: Header=BB0_585 Depth=2
	v_mov_b32_e32 v4, s7
	ds_read_u8 v4, v4
	s_waitcnt lgkmcnt(0)
	v_and_b32_e32 v4, 1, v4
	s_cbranch_execnz .LBB0_588
.LBB0_587:                              ;   in Loop: Header=BB0_585 Depth=2
	v_mov_b32_e32 v4, s5
	ds_read_u16 v4, v4
	s_waitcnt lgkmcnt(0)
	v_bfe_u32 v4, v4, 6, 1
.LBB0_588:                              ;   in Loop: Header=BB0_585 Depth=2
	v_cmp_eq_u32_e32 vcc_lo, 0, v4
	s_cbranch_vccnz .LBB0_584
; %bb.589:                              ;   in Loop: Header=BB0_585 Depth=2
	s_memrealtime s[8:9]
	ds_read_u8 v7, v41 offset:17064
	ds_read_b32 v2, v41 offset:16560
	ds_read_b64 v[4:5], v41 offset:16664
	v_and_b32_e32 v6, 63, v0
	v_lshlrev_b32_e32 v6, 4, v6
	s_waitcnt lgkmcnt(0)
	v_ashrrev_i32_e32 v3, 31, v2
	v_lshlrev_b64 v[8:9], 10, v[2:3]
	v_mov_b32_e32 v2, s8
	v_mov_b32_e32 v3, s9
	v_add_co_u32 v4, vcc_lo, v4, v8
	v_add_co_ci_u32_e64 v5, null, v5, v9, vcc_lo
	v_add_co_u32 v4, vcc_lo, v4, v6
	v_add_co_ci_u32_e64 v5, null, 0, v5, vcc_lo
	flat_store_dwordx4 v[4:5], v[0:3]
	ds_read_b64 v[2:3], v41 offset:17040
	ds_read_b32 v6, v41 offset:17068
	s_branch .LBB0_584
.LBB0_590:                              ;   in Loop: Header=BB0_585 Depth=2
                                        ; implicit-def: $vgpr4
	s_branch .LBB0_587
.LBB0_591:                              ;   in Loop: Header=BB0_90 Depth=1
	s_cbranch_execz .LBB0_90
	s_branch .LBB0_76
.LBB0_592:                              ;   in Loop: Header=BB0_90 Depth=1
	ds_write_b64 v41, v[4:5] offset:17040
.LBB0_593:                              ;   in Loop: Header=BB0_90 Depth=1
	s_or_b32 exec_lo, exec_lo, s4
	v_mov_b32_e32 v9, v44
	s_mov_b32 s12, 0
                                        ; implicit-def: $vgpr0_vgpr1_vgpr2_vgpr3
	s_branch .LBB0_596
.LBB0_594:                              ;   in Loop: Header=BB0_596 Depth=2
	s_or_b32 exec_lo, exec_lo, s9
	v_mov_b32_e32 v4, v9
	s_mov_b32 s9, s6
.LBB0_595:                              ;   in Loop: Header=BB0_596 Depth=2
	v_mov_b32_e32 v9, v4
	s_andn2_b32 vcc_lo, exec_lo, s5
	s_mov_b32 s6, s9
	s_cbranch_vccz .LBB0_89
.LBB0_596:                              ;   Parent Loop BB0_90 Depth=1
                                        ; =>  This Inner Loop Header: Depth=2
	s_ashr_i32 s7, s6, 31
	s_lshl_b64 s[4:5], s[6:7], 4
	s_add_u32 s4, s36, s4
	s_addc_u32 s5, s37, s5
	s_load_dwordx4 s[8:11], s[4:5], 0x30
	s_mov_b32 s4, exec_lo
	s_waitcnt lgkmcnt(0)
	v_and_b32_e32 v4, s10, v46
	v_cmpx_ne_u32_e32 0, v4
; %bb.597:                              ;   in Loop: Header=BB0_596 Depth=2
	v_and_b32_e32 v4, s10, v47
	v_bcnt_u32_b32 v4, v4, v45
	ds_write_b8 v4, v44
; %bb.598:                              ;   in Loop: Header=BB0_596 Depth=2
	s_or_b32 exec_lo, exec_lo, s4
	v_and_b32_e32 v4, s11, v46
	s_bcnt1_i32_b32 s4, s10
	s_mov_b32 s5, exec_lo
	v_cmpx_ne_u32_e32 0, v4
	s_cbranch_execz .LBB0_600
; %bb.599:                              ;   in Loop: Header=BB0_596 Depth=2
	v_and_b32_e32 v4, s11, v47
	v_bcnt_u32_b32 v4, v4, 0
	v_add3_u32 v4, v45, s4, v4
	ds_write_b8 v4, v56
.LBB0_600:                              ;   in Loop: Header=BB0_596 Depth=2
	s_or_b32 exec_lo, exec_lo, s5
	s_bcnt1_i32_b32 s10, s11
	s_bfe_u32 s7, s8, 0x2000f
	s_add_i32 s10, s10, s4
	s_cmp_lt_i32 s7, 1
	s_mov_b32 s4, -1
                                        ; implicit-def: $vgpr10
                                        ; implicit-def: $vgpr11
                                        ; implicit-def: $vgpr4
                                        ; implicit-def: $vgpr12
	s_cbranch_scc1 .LBB0_608
; %bb.601:                              ;   in Loop: Header=BB0_596 Depth=2
	s_cmp_lg_u32 s7, 1
                                        ; implicit-def: $vgpr10
                                        ; implicit-def: $vgpr11
                                        ; implicit-def: $vgpr4
	s_cbranch_scc0 .LBB0_603
; %bb.602:                              ;   in Loop: Header=BB0_596 Depth=2
	v_mul_hi_i32 v4, 0x66666667, v9
	s_mov_b32 s4, 0
	v_lshrrev_b32_e32 v5, 31, v4
	v_ashrrev_i32_e32 v4, 3, v4
	v_add_nc_u32_e32 v10, v4, v5
	v_mul_u32_u24_e64 v4, s10, 20
	v_mul_lo_u32 v5, v10, 20
	v_sub_nc_u32_e32 v11, v9, v5
.LBB0_603:                              ;   in Loop: Header=BB0_596 Depth=2
	s_andn2_b32 vcc_lo, exec_lo, s4
	s_movk_i32 s4, 0x140
	s_cbranch_vccnz .LBB0_605
; %bb.604:                              ;   in Loop: Header=BB0_596 Depth=2
	v_ashrrev_i32_e32 v4, 31, v9
	s_lshl_b32 s4, s10, 3
	v_lshrrev_b32_e32 v4, 29, v4
	v_add_nc_u32_e32 v4, v9, v4
	v_and_b32_e32 v5, -8, v4
	v_ashrrev_i32_e32 v10, 3, v4
	v_mov_b32_e32 v4, s4
	s_movk_i32 s4, 0x80
	v_sub_nc_u32_e32 v11, v9, v5
.LBB0_605:                              ;   in Loop: Header=BB0_596 Depth=2
	v_mov_b32_e32 v12, s4
	s_cbranch_execz .LBB0_609
.LBB0_606:                              ;   in Loop: Header=BB0_596 Depth=2
	v_cmp_eq_u32_e64 s4, 0, v9
	s_and_saveexec_b32 s5, s4
	s_cbranch_execz .LBB0_610
.LBB0_607:                              ;   in Loop: Header=BB0_596 Depth=2
	ds_write_b32 v41, v12 offset:17072
	s_or_b32 exec_lo, exec_lo, s5
	s_mov_b32 s11, exec_lo
	v_cmpx_lt_i32_e64 v9, v4
	s_cbranch_execz .LBB0_618
	s_branch .LBB0_611
.LBB0_608:                              ;   in Loop: Header=BB0_596 Depth=2
	s_andn2_b32 vcc_lo, exec_lo, s4
	s_cbranch_vccnz .LBB0_606
.LBB0_609:                              ;   in Loop: Header=BB0_596 Depth=2
	v_ashrrev_i32_e32 v4, 31, v9
	s_lshl_b32 s4, s10, 2
	v_mov_b32_e32 v12, 64
	v_lshrrev_b32_e32 v4, 30, v4
	v_add_nc_u32_e32 v4, v9, v4
	v_and_b32_e32 v5, -4, v4
	v_ashrrev_i32_e32 v10, 2, v4
	v_mov_b32_e32 v4, s4
	v_sub_nc_u32_e32 v11, v9, v5
	v_cmp_eq_u32_e64 s4, 0, v9
	s_and_saveexec_b32 s5, s4
	s_cbranch_execnz .LBB0_607
.LBB0_610:                              ;   in Loop: Header=BB0_596 Depth=2
	s_or_b32 exec_lo, exec_lo, s5
	s_mov_b32 s11, exec_lo
	v_cmpx_lt_i32_e64 v9, v4
	s_cbranch_execz .LBB0_618
.LBB0_611:                              ;   in Loop: Header=BB0_596 Depth=2
	ds_read_u8 v4, v41 offset:16536
	v_add_nc_u32_e32 v5, v45, v10
	v_lshlrev_b32_e32 v13, 4, v11
	ds_read_u8 v14, v5
	s_waitcnt lgkmcnt(1)
	v_cmp_ne_u32_e64 s5, 0, v4
	s_and_b32 vcc_lo, exec_lo, s5
	s_cbranch_vccz .LBB0_614
; %bb.612:                              ;   in Loop: Header=BB0_596 Depth=2
	s_and_b32 vcc_lo, exec_lo, s5
	s_mov_b32 s5, -1
                                        ; implicit-def: $vgpr4_vgpr5_vgpr6_vgpr7
                                        ; implicit-def: $vgpr8
	s_cbranch_vccz .LBB0_615
.LBB0_613:                              ;   in Loop: Header=BB0_596 Depth=2
	ds_read_b32 v6, v41 offset:16540
	ds_read_b64 v[4:5], v41 offset:16544
	s_waitcnt lgkmcnt(2)
	v_mul_u32_u24_e32 v7, v12, v14
	v_lshlrev_b32_e32 v8, 4, v11
	v_add3_u32 v7, v8, s9, v7
	s_waitcnt lgkmcnt(1)
	v_and_b32_e32 v6, v6, v7
	s_waitcnt lgkmcnt(0)
	v_add_co_u32 v4, vcc_lo, v4, v6
	v_add_co_ci_u32_e64 v5, null, 0, v5, vcc_lo
	flat_load_dwordx4 v[4:7], v[4:5]
	s_cbranch_execz .LBB0_616
	s_branch .LBB0_617
.LBB0_614:                              ;   in Loop: Header=BB0_596 Depth=2
	v_lshlrev_b32_e32 v0, 4, v11
	s_waitcnt lgkmcnt(0)
	v_mul_u32_u24_e32 v1, v12, v14
	v_add3_u32 v0, v0, s9, v1
	global_load_dwordx4 v[0:3], v0, s[36:37]
	s_and_b32 vcc_lo, exec_lo, s5
	s_mov_b32 s5, -1
                                        ; implicit-def: $vgpr4_vgpr5_vgpr6_vgpr7
                                        ; implicit-def: $vgpr8
	s_cbranch_vccnz .LBB0_613
.LBB0_615:                              ;   in Loop: Header=BB0_596 Depth=2
	s_andn2_b32 vcc_lo, exec_lo, s5
	s_cbranch_vccnz .LBB0_617
.LBB0_616:                              ;   in Loop: Header=BB0_596 Depth=2
	s_waitcnt vmcnt(0) lgkmcnt(0)
	v_mov_b32_e32 v7, v3
	v_mov_b32_e32 v8, v13
	;; [unrolled: 1-line block ×5, first 2 shown]
.LBB0_617:                              ;   in Loop: Header=BB0_596 Depth=2
	s_waitcnt vmcnt(0)
	v_add_nc_u32_e32 v0, s12, v10
	v_mad_u64_u32 v[10:11], null, v0, v12, v[8:9]
	s_waitcnt lgkmcnt(0)
	v_mov_b32_e32 v0, v4
	v_mov_b32_e32 v1, v5
	;; [unrolled: 1-line block ×4, first 2 shown]
	ds_write_b128 v10, v[4:7] offset:20176
.LBB0_618:                              ;   in Loop: Header=BB0_596 Depth=2
	s_or_b32 exec_lo, exec_lo, s11
	s_bitcmp0_b32 s8, 14
	v_readfirstlane_b32 s9, v0
	s_cselect_b32 s5, -1, 0
	s_mov_b32 s11, -1
	s_and_b32 vcc_lo, exec_lo, s5
                                        ; implicit-def: $vgpr4
	s_cbranch_vccnz .LBB0_620
; %bb.619:                              ;   in Loop: Header=BB0_596 Depth=2
	v_cmp_gt_i32_e32 vcc_lo, 64, v9
	s_and_b32 s9, s8, 0x3fff
	s_add_i32 s9, s9, s6
	v_cndmask_b32_e64 v4, 0, s54, vcc_lo
	v_add3_u32 v4, v9, v4, 0xffffffc0
	s_add_i32 s12, s10, s12
	s_cbranch_execnz .LBB0_595
	s_branch .LBB0_621
.LBB0_620:                              ;   in Loop: Header=BB0_596 Depth=2
	s_andn2_b32 vcc_lo, exec_lo, s11
	s_add_i32 s12, s10, s12
	s_cbranch_vccnz .LBB0_595
.LBB0_621:                              ;   in Loop: Header=BB0_596 Depth=2
	s_and_saveexec_b32 s9, s4
	s_cbranch_execz .LBB0_594
; %bb.622:                              ;   in Loop: Header=BB0_596 Depth=2
	s_and_b32 s4, s8, 0x3fff
	v_mov_b32_e32 v6, s7
	s_add_i32 s10, s4, s6
	s_cmp_lg_u32 s4, 0
	v_mov_b32_e32 v9, 0
	s_cselect_b32 s4, s10, -1
	v_mov_b32_e32 v4, s6
	s_lshr_b32 s7, s8, 17
	v_mov_b32_e32 v5, s4
	v_mov_b32_e32 v7, s12
	;; [unrolled: 1-line block ×3, first 2 shown]
	ds_write_b8 v41, v6 offset:17064
	ds_write_b64 v41, v[4:5] offset:17056
	ds_write_b32 v41, v7 offset:17068
	ds_write_b16 v41, v8 offset:17066
	s_branch .LBB0_594
	.section	.rodata,"a",@progbits
	.p2align	6, 0x0
	.amdhsa_kernel _Z23ncclDevKernel_Generic_124ncclDevKernelArgsStorageILm4096EE
		.amdhsa_group_segment_fixed_size 21216
		.amdhsa_private_segment_fixed_size 0
		.amdhsa_kernarg_size 4352
		.amdhsa_user_sgpr_count 14
		.amdhsa_user_sgpr_private_segment_buffer 1
		.amdhsa_user_sgpr_dispatch_ptr 1
		.amdhsa_user_sgpr_queue_ptr 1
		.amdhsa_user_sgpr_kernarg_segment_ptr 1
		.amdhsa_user_sgpr_dispatch_id 1
		.amdhsa_user_sgpr_flat_scratch_init 1
		.amdhsa_user_sgpr_private_segment_size 0
		.amdhsa_wavefront_size32 1
		.amdhsa_uses_dynamic_stack 1
		.amdhsa_system_sgpr_private_segment_wavefront_offset 1
		.amdhsa_system_sgpr_workgroup_id_x 1
		.amdhsa_system_sgpr_workgroup_id_y 1
		.amdhsa_system_sgpr_workgroup_id_z 1
		.amdhsa_system_sgpr_workgroup_info 0
		.amdhsa_system_vgpr_workitem_id 2
		.amdhsa_next_free_vgpr max(totalnumvgprs(_Z23ncclDevKernel_Generic_124ncclDevKernelArgsStorageILm4096EE.num_agpr, _Z23ncclDevKernel_Generic_124ncclDevKernelArgsStorageILm4096EE.num_vgpr), 1, 65)
		.amdhsa_next_free_sgpr max(_Z23ncclDevKernel_Generic_124ncclDevKernelArgsStorageILm4096EE.numbered_sgpr+2, 1, 0)-2
		.amdhsa_reserve_vcc 1
		.amdhsa_reserve_flat_scratch 1
		.amdhsa_float_round_mode_32 0
		.amdhsa_float_round_mode_16_64 0
		.amdhsa_float_denorm_mode_32 3
		.amdhsa_float_denorm_mode_16_64 3
		.amdhsa_dx10_clamp 1
		.amdhsa_ieee_mode 1
		.amdhsa_fp16_overflow 0
		.amdhsa_workgroup_processor_mode 1
		.amdhsa_memory_ordered 1
		.amdhsa_forward_progress 1
		.amdhsa_shared_vgpr_count 0
		.amdhsa_exception_fp_ieee_invalid_op 0
		.amdhsa_exception_fp_denorm_src 0
		.amdhsa_exception_fp_ieee_div_zero 0
		.amdhsa_exception_fp_ieee_overflow 0
		.amdhsa_exception_fp_ieee_underflow 0
		.amdhsa_exception_fp_ieee_inexact 0
		.amdhsa_exception_int_div_zero 0
	.end_amdhsa_kernel
	.text
.Lfunc_end0:
	.size	_Z23ncclDevKernel_Generic_124ncclDevKernelArgsStorageILm4096EE, .Lfunc_end0-_Z23ncclDevKernel_Generic_124ncclDevKernelArgsStorageILm4096EE
                                        ; -- End function
	.set _Z23ncclDevKernel_Generic_124ncclDevKernelArgsStorageILm4096EE.num_vgpr, max(58, amdgpu.max_num_vgpr)
	.set _Z23ncclDevKernel_Generic_124ncclDevKernelArgsStorageILm4096EE.num_agpr, max(0, amdgpu.max_num_agpr)
	.set _Z23ncclDevKernel_Generic_124ncclDevKernelArgsStorageILm4096EE.numbered_sgpr, max(66, amdgpu.max_num_sgpr)
	.set _Z23ncclDevKernel_Generic_124ncclDevKernelArgsStorageILm4096EE.num_named_barrier, max(0, amdgpu.max_num_named_barrier)
	.set _Z23ncclDevKernel_Generic_124ncclDevKernelArgsStorageILm4096EE.private_seg_size, 0
	.set _Z23ncclDevKernel_Generic_124ncclDevKernelArgsStorageILm4096EE.uses_vcc, 1
	.set _Z23ncclDevKernel_Generic_124ncclDevKernelArgsStorageILm4096EE.uses_flat_scratch, 1
	.set _Z23ncclDevKernel_Generic_124ncclDevKernelArgsStorageILm4096EE.has_dyn_sized_stack, 1
	.set _Z23ncclDevKernel_Generic_124ncclDevKernelArgsStorageILm4096EE.has_recursion, 1
	.set _Z23ncclDevKernel_Generic_124ncclDevKernelArgsStorageILm4096EE.has_indirect_call, 1
	.section	.AMDGPU.csdata,"",@progbits
; Kernel info:
; codeLenInByte = 15948
; TotalNumSgprs: _Z23ncclDevKernel_Generic_124ncclDevKernelArgsStorageILm4096EE.numbered_sgpr+2
; NumVgprs: _Z23ncclDevKernel_Generic_124ncclDevKernelArgsStorageILm4096EE.num_vgpr
; ScratchSize: 0
; MemoryBound: 0
; FloatMode: 240
; IeeeMode: 1
; LDSByteSize: 21216 bytes/workgroup (compile time only)
; SGPRBlocks: 0
; VGPRBlocks: (alignto(max(max(totalnumvgprs(_Z23ncclDevKernel_Generic_124ncclDevKernelArgsStorageILm4096EE.num_agpr, _Z23ncclDevKernel_Generic_124ncclDevKernelArgsStorageILm4096EE.num_vgpr), 1, 65), 1), 8)/8)-1
; NumSGPRsForWavesPerEU: max(_Z23ncclDevKernel_Generic_124ncclDevKernelArgsStorageILm4096EE.numbered_sgpr+2, 1, 0)
; NumVGPRsForWavesPerEU: max(totalnumvgprs(_Z23ncclDevKernel_Generic_124ncclDevKernelArgsStorageILm4096EE.num_agpr, _Z23ncclDevKernel_Generic_124ncclDevKernelArgsStorageILm4096EE.num_vgpr), 1, 65)
; Occupancy: occupancy(16, 16, 1024, 9, 12, max(_Z23ncclDevKernel_Generic_124ncclDevKernelArgsStorageILm4096EE.numbered_sgpr+extrasgprs(_Z23ncclDevKernel_Generic_124ncclDevKernelArgsStorageILm4096EE.uses_vcc, _Z23ncclDevKernel_Generic_124ncclDevKernelArgsStorageILm4096EE.uses_flat_scratch, 0), 1, 0), max(totalnumvgprs(_Z23ncclDevKernel_Generic_124ncclDevKernelArgsStorageILm4096EE.num_agpr, _Z23ncclDevKernel_Generic_124ncclDevKernelArgsStorageILm4096EE.num_vgpr), 1, 65))
; WaveLimiterHint : 0
; COMPUTE_PGM_RSRC2:SCRATCH_EN: 1
; COMPUTE_PGM_RSRC2:USER_SGPR: 14
; COMPUTE_PGM_RSRC2:TRAP_HANDLER: 0
; COMPUTE_PGM_RSRC2:TGID_X_EN: 1
; COMPUTE_PGM_RSRC2:TGID_Y_EN: 1
; COMPUTE_PGM_RSRC2:TGID_Z_EN: 1
; COMPUTE_PGM_RSRC2:TIDIG_COMP_CNT: 2
	.text
	.protected	_Z23ncclDevKernel_Generic_224ncclDevKernelArgsStorageILm4096EE ; -- Begin function _Z23ncclDevKernel_Generic_224ncclDevKernelArgsStorageILm4096EE
	.globl	_Z23ncclDevKernel_Generic_224ncclDevKernelArgsStorageILm4096EE
	.p2align	8
	.type	_Z23ncclDevKernel_Generic_224ncclDevKernelArgsStorageILm4096EE,@function
_Z23ncclDevKernel_Generic_224ncclDevKernelArgsStorageILm4096EE: ; @_Z23ncclDevKernel_Generic_224ncclDevKernelArgsStorageILm4096EE
; %bb.0:
	s_add_u32 s12, s12, s17
	s_mov_b32 s32, 0
	s_addc_u32 s13, s13, 0
	s_setreg_b32 hwreg(HW_REG_FLAT_SCR_LO), s12
	s_setreg_b32 hwreg(HW_REG_FLAT_SCR_HI), s13
	s_add_u32 s0, s0, s17
	s_addc_u32 s1, s1, 0
	s_mov_b32 s33, s16
	s_mov_b32 s50, s15
	;; [unrolled: 1-line block ×3, first 2 shown]
	s_mov_b64 s[34:35], s[10:11]
	s_mov_b64 s[36:37], s[8:9]
	;; [unrolled: 1-line block ×4, first 2 shown]
	s_mov_b32 s4, exec_lo
	v_cmpx_gt_u32_e32 12, v0
	s_cbranch_execz .LBB1_2
; %bb.1:
	v_lshlrev_b32_e32 v3, 2, v0
	global_load_dword v4, v3, s[36:37]
	s_waitcnt vmcnt(0)
	ds_write_b32 v3, v4 offset:16512
.LBB1_2:
	s_or_b32 exec_lo, exec_lo, s4
	s_load_dword s8, s[36:37], 0x100c
	v_lshrrev_b32_e32 v12, 5, v0
	v_mov_b32_e32 v5, v0
	s_mov_b32 s4, exec_lo
	v_cmpx_lt_i32_e32 0, v12
	s_xor_b32 s4, exec_lo, s4
	s_cbranch_execz .LBB1_16
; %bb.3:
	s_mov_b32 s5, exec_lo
	v_cmpx_lt_i32_e32 2, v12
	s_xor_b32 s5, exec_lo, s5
	s_cbranch_execz .LBB1_8
; %bb.4:
	s_mov_b32 s6, exec_lo
	v_cmpx_eq_u32_e32 3, v12
	s_cbranch_execz .LBB1_7
; %bb.5:
	v_cmp_eq_u32_e32 vcc_lo, 0x60, v0
	s_and_b32 exec_lo, exec_lo, vcc_lo
; %bb.6:
	v_mov_b32_e32 v3, 0
	ds_write_b32 v3, v3 offset:16564
.LBB1_7:
	s_or_b32 exec_lo, exec_lo, s6
.LBB1_8:
	s_andn2_saveexec_b32 s5, s5
	s_cbranch_execz .LBB1_15
; %bb.9:
	s_mov_b32 s6, exec_lo
	v_cmpx_eq_u32_e32 1, v12
	s_cbranch_execz .LBB1_14
; %bb.10:
	v_cmp_gt_u32_e32 vcc_lo, 40, v0
	s_and_b32 exec_lo, exec_lo, vcc_lo
	s_cbranch_execz .LBB1_14
; %bb.11:
	s_mov_b32 s7, exec_lo
	v_cmpx_eq_u32_e32 32, v0
; %bb.12:
	v_mov_b32_e32 v3, 0
	v_mov_b32_e32 v4, v3
	ds_write_b64 v3, v[3:4] offset:21208
; %bb.13:
	s_or_b32 exec_lo, exec_lo, s7
	v_mov_b32_e32 v3, 0
	v_mul_u32_u24_e32 v5, 0x160, v0
	v_mov_b32_e32 v4, v3
	ds_write_b64 v5, v[3:4] offset:6104
.LBB1_14:
	s_or_b32 exec_lo, exec_lo, s6
.LBB1_15:
	s_or_b32 exec_lo, exec_lo, s5
                                        ; implicit-def: $vgpr5
.LBB1_16:
	s_andn2_saveexec_b32 s9, s4
	s_cbranch_execz .LBB1_22
; %bb.17:
	s_load_dwordx2 s[6:7], s[36:37], 0x8
	v_lshlrev_b64 v[3:4], v0, 1
	s_mov_b32 s10, 0
	s_mov_b32 s5, exec_lo
	s_waitcnt lgkmcnt(0)
	v_and_b32_e32 v7, s7, v4
	v_and_b32_e32 v6, s6, v3
	v_cmp_eq_u64_e64 s4, 0, v[6:7]
	v_cmpx_ne_u64_e32 0, v[6:7]
	s_cbranch_execz .LBB1_56
; %bb.18:
	v_add_co_u32 v3, vcc_lo, v3, -1
	v_add_co_ci_u32_e64 v4, null, -1, v4, vcc_lo
	s_andn2_b32 s4, s4, exec_lo
	v_and_b32_e32 v3, s6, v3
	s_mov_b32 s10, exec_lo
	v_and_b32_e32 v4, s7, v4
	v_bcnt_u32_b32 v3, v3, 0
	v_bcnt_u32_b32 v3, v4, v3
	v_cmp_ne_u32_e32 vcc_lo, s51, v3
	s_and_b32 s11, vcc_lo, exec_lo
	s_or_b32 s4, s4, s11
	s_or_b32 exec_lo, exec_lo, s5
	v_mov_b32_e32 v3, 0
	s_and_saveexec_b32 s11, s4
	s_cbranch_execnz .LBB1_57
.LBB1_19:
	s_or_b32 exec_lo, exec_lo, s11
	s_and_saveexec_b32 s4, s10
.LBB1_20:
	v_add_nc_u32_e32 v3, v3, v5
	v_mov_b32_e32 v4, 0
	ds_write_b32 v4, v3 offset:16560
.LBB1_21:
	s_or_b32 exec_lo, exec_lo, s4
.LBB1_22:
	s_or_b32 exec_lo, exec_lo, s9
	v_cmp_eq_u32_e64 s52, 0, v0
	s_waitcnt lgkmcnt(0)
	s_barrier
	buffer_gl0_inv
	s_and_saveexec_b32 s4, s52
	s_cbranch_execz .LBB1_24
; %bb.23:
	v_mov_b32_e32 v5, 0
	ds_read_b32 v6, v5 offset:16560
	ds_read_b64 v[3:4], v5 offset:16512
	s_waitcnt lgkmcnt(1)
	v_mul_lo_u32 v7, 0x180, v6
	v_mul_hi_i32 v6, 0x180, v6
	s_waitcnt lgkmcnt(0)
	v_add_co_u32 v3, vcc_lo, v3, v7
	v_add_co_ci_u32_e64 v4, null, v4, v6, vcc_lo
	flat_load_dwordx2 v[3:4], v[3:4] offset:464
	ds_write_b32 v5, v5 offset:16564
	s_waitcnt vmcnt(0) lgkmcnt(1)
	ds_write_b64 v5, v[3:4] offset:17040
.LBB1_24:
	s_or_b32 exec_lo, exec_lo, s4
	s_and_b32 s54, 0xffff, s8
	s_mov_b32 s4, exec_lo
	v_cmpx_lt_i32_e32 0, v12
	s_xor_b32 s10, exec_lo, s4
	s_cbranch_execz .LBB1_71
; %bb.25:
	s_mov_b32 s4, exec_lo
	v_cmpx_ne_u32_e32 1, v12
	s_xor_b32 s11, exec_lo, s4
	s_cbranch_execz .LBB1_66
; %bb.26:
	v_subrev_nc_u32_e32 v19, 64, v0
	v_mul_u32_u24_e32 v14, 0x810, v12
	v_mov_b32_e32 v18, 0
	s_sub_i32 s12, s54, 64
	s_mov_b32 s13, 0
	v_lshrrev_b16 v3, 11, v19
	s_mov_b32 s6, s51
	v_add_nc_u16 v3, v19, v3
	v_and_b32_e32 v3, 0xffffffe0, v3
	v_sub_nc_u16 v13, v19, v3
	v_and_b32_e32 v3, 0xffff, v13
	v_add_nc_u16 v15, v13, 32
	v_lshlrev_b32_e64 v16, v3, 1
	v_bfm_b32 v17, v3, 0
                                        ; implicit-def: $vgpr3_vgpr4_vgpr5_vgpr6
	s_branch .LBB1_29
.LBB1_27:                               ;   in Loop: Header=BB1_29 Depth=1
	s_or_b32 exec_lo, exec_lo, s9
	v_mov_b32_e32 v7, v19
	s_mov_b32 s9, s6
.LBB1_28:                               ;   in Loop: Header=BB1_29 Depth=1
	v_mov_b32_e32 v19, v7
	s_andn2_b32 vcc_lo, exec_lo, s5
	s_mov_b32 s6, s9
	s_cbranch_vccz .LBB1_66
.LBB1_29:                               ; =>This Inner Loop Header: Depth=1
	s_ashr_i32 s7, s6, 31
	s_lshl_b64 s[4:5], s[6:7], 4
	s_mov_b32 s7, exec_lo
	s_add_u32 s8, s36, s4
	s_addc_u32 s9, s37, s5
	s_load_dwordx2 s[4:5], s[8:9], 0x38
	s_waitcnt lgkmcnt(0)
	v_and_b32_e32 v7, s4, v16
	v_cmpx_ne_u32_e32 0, v7
; %bb.30:                               ;   in Loop: Header=BB1_29 Depth=1
	v_and_b32_e32 v7, s4, v17
	v_bcnt_u32_b32 v7, v7, v14
	ds_write_b8 v7, v13
; %bb.31:                               ;   in Loop: Header=BB1_29 Depth=1
	s_or_b32 exec_lo, exec_lo, s7
	s_load_dwordx2 s[8:9], s[8:9], 0x30
	v_and_b32_e32 v7, s5, v16
	s_bcnt1_i32_b32 s4, s4
	s_mov_b32 s7, exec_lo
	v_cmpx_ne_u32_e32 0, v7
	s_cbranch_execz .LBB1_33
; %bb.32:                               ;   in Loop: Header=BB1_29 Depth=1
	v_and_b32_e32 v7, s5, v17
	v_bcnt_u32_b32 v7, v7, 0
	v_add3_u32 v7, v14, s4, v7
	ds_write_b8 v7, v15
.LBB1_33:                               ;   in Loop: Header=BB1_29 Depth=1
	s_or_b32 exec_lo, exec_lo, s7
	s_bcnt1_i32_b32 s14, s5
	s_waitcnt lgkmcnt(0)
	s_bfe_u32 s7, s8, 0x2000f
	s_add_i32 s14, s14, s4
	s_cmp_lt_i32 s7, 1
	s_mov_b32 s4, -1
                                        ; implicit-def: $vgpr20
                                        ; implicit-def: $vgpr21
                                        ; implicit-def: $vgpr7
                                        ; implicit-def: $vgpr22
	s_cbranch_scc1 .LBB1_41
; %bb.34:                               ;   in Loop: Header=BB1_29 Depth=1
	s_cmp_lg_u32 s7, 1
                                        ; implicit-def: $vgpr20
                                        ; implicit-def: $vgpr21
                                        ; implicit-def: $vgpr7
	s_cbranch_scc0 .LBB1_36
; %bb.35:                               ;   in Loop: Header=BB1_29 Depth=1
	v_mul_hi_i32 v7, 0x66666667, v19
	s_mov_b32 s4, 0
	v_lshrrev_b32_e32 v8, 31, v7
	v_ashrrev_i32_e32 v7, 3, v7
	v_add_nc_u32_e32 v20, v7, v8
	v_mul_u32_u24_e64 v7, s14, 20
	v_mul_lo_u32 v8, v20, 20
	v_sub_nc_u32_e32 v21, v19, v8
.LBB1_36:                               ;   in Loop: Header=BB1_29 Depth=1
	s_andn2_b32 vcc_lo, exec_lo, s4
	s_movk_i32 s4, 0x140
	s_cbranch_vccnz .LBB1_38
; %bb.37:                               ;   in Loop: Header=BB1_29 Depth=1
	v_ashrrev_i32_e32 v7, 31, v19
	s_lshl_b32 s4, s14, 3
	v_lshrrev_b32_e32 v7, 29, v7
	v_add_nc_u32_e32 v7, v19, v7
	v_and_b32_e32 v8, -8, v7
	v_ashrrev_i32_e32 v20, 3, v7
	v_mov_b32_e32 v7, s4
	s_movk_i32 s4, 0x80
	v_sub_nc_u32_e32 v21, v19, v8
.LBB1_38:                               ;   in Loop: Header=BB1_29 Depth=1
	v_mov_b32_e32 v22, s4
	s_cbranch_execz .LBB1_42
.LBB1_39:                               ;   in Loop: Header=BB1_29 Depth=1
	v_cmp_eq_u32_e64 s4, 0, v19
	s_and_saveexec_b32 s5, s4
	s_cbranch_execz .LBB1_43
.LBB1_40:                               ;   in Loop: Header=BB1_29 Depth=1
	ds_write_b32 v18, v22 offset:17072
	s_or_b32 exec_lo, exec_lo, s5
	s_mov_b32 s15, exec_lo
	v_cmpx_lt_i32_e64 v19, v7
	s_cbranch_execz .LBB1_51
	s_branch .LBB1_44
.LBB1_41:                               ;   in Loop: Header=BB1_29 Depth=1
	s_andn2_b32 vcc_lo, exec_lo, s4
	s_cbranch_vccnz .LBB1_39
.LBB1_42:                               ;   in Loop: Header=BB1_29 Depth=1
	v_ashrrev_i32_e32 v7, 31, v19
	s_lshl_b32 s4, s14, 2
	v_mov_b32_e32 v22, 64
	v_lshrrev_b32_e32 v7, 30, v7
	v_add_nc_u32_e32 v7, v19, v7
	v_and_b32_e32 v8, -4, v7
	v_ashrrev_i32_e32 v20, 2, v7
	v_mov_b32_e32 v7, s4
	v_sub_nc_u32_e32 v21, v19, v8
	v_cmp_eq_u32_e64 s4, 0, v19
	s_and_saveexec_b32 s5, s4
	s_cbranch_execnz .LBB1_40
.LBB1_43:                               ;   in Loop: Header=BB1_29 Depth=1
	s_or_b32 exec_lo, exec_lo, s5
	s_mov_b32 s15, exec_lo
	v_cmpx_lt_i32_e64 v19, v7
	s_cbranch_execz .LBB1_51
.LBB1_44:                               ;   in Loop: Header=BB1_29 Depth=1
	ds_read_u8 v7, v18 offset:16536
	v_add_nc_u32_e32 v8, v14, v20
	ds_read_u8 v23, v8
	s_waitcnt lgkmcnt(1)
	v_cmp_ne_u32_e64 s5, 0, v7
	s_and_b32 vcc_lo, exec_lo, s5
	s_cbranch_vccz .LBB1_47
; %bb.45:                               ;   in Loop: Header=BB1_29 Depth=1
	s_and_b32 vcc_lo, exec_lo, s5
	s_mov_b32 s5, -1
                                        ; implicit-def: $vgpr7_vgpr8_vgpr9_vgpr10
                                        ; implicit-def: $vgpr11
	s_cbranch_vccz .LBB1_48
.LBB1_46:                               ;   in Loop: Header=BB1_29 Depth=1
	ds_read_b32 v9, v18 offset:16540
	ds_read_b64 v[7:8], v18 offset:16544
	s_waitcnt lgkmcnt(2)
	v_mul_u32_u24_e32 v10, v22, v23
	v_lshlrev_b32_e32 v11, 4, v21
	v_add3_u32 v10, v11, s9, v10
	s_waitcnt lgkmcnt(1)
	v_and_b32_e32 v9, v9, v10
	s_waitcnt lgkmcnt(0)
	v_add_co_u32 v7, vcc_lo, v7, v9
	v_add_co_ci_u32_e64 v8, null, 0, v8, vcc_lo
	flat_load_dwordx4 v[7:10], v[7:8]
	s_cbranch_execz .LBB1_49
	s_branch .LBB1_50
.LBB1_47:                               ;   in Loop: Header=BB1_29 Depth=1
	v_lshlrev_b32_e32 v3, 4, v21
	s_waitcnt lgkmcnt(0)
	v_mul_u32_u24_e32 v4, v22, v23
	v_add3_u32 v3, v3, s9, v4
	global_load_dwordx4 v[3:6], v3, s[36:37]
	s_and_b32 vcc_lo, exec_lo, s5
	s_mov_b32 s5, -1
                                        ; implicit-def: $vgpr7_vgpr8_vgpr9_vgpr10
                                        ; implicit-def: $vgpr11
	s_cbranch_vccnz .LBB1_46
.LBB1_48:                               ;   in Loop: Header=BB1_29 Depth=1
	s_andn2_b32 vcc_lo, exec_lo, s5
	s_cbranch_vccnz .LBB1_50
.LBB1_49:                               ;   in Loop: Header=BB1_29 Depth=1
	s_waitcnt vmcnt(0) lgkmcnt(0)
	v_mov_b32_e32 v10, v6
	v_lshlrev_b32_e32 v11, 4, v21
	v_mov_b32_e32 v9, v5
	v_mov_b32_e32 v8, v4
	;; [unrolled: 1-line block ×3, first 2 shown]
.LBB1_50:                               ;   in Loop: Header=BB1_29 Depth=1
	s_waitcnt vmcnt(0)
	v_add_nc_u32_e32 v3, s13, v20
	v_mad_u64_u32 v[20:21], null, v3, v22, v[11:12]
	s_waitcnt lgkmcnt(0)
	v_mov_b32_e32 v3, v7
	v_mov_b32_e32 v4, v8
	;; [unrolled: 1-line block ×4, first 2 shown]
	ds_write_b128 v20, v[7:10] offset:20176
.LBB1_51:                               ;   in Loop: Header=BB1_29 Depth=1
	s_or_b32 exec_lo, exec_lo, s15
	s_bitcmp0_b32 s8, 14
	v_readfirstlane_b32 s9, v0
	s_cselect_b32 s5, -1, 0
	s_mov_b32 s15, -1
	s_and_b32 vcc_lo, exec_lo, s5
                                        ; implicit-def: $vgpr7
	s_cbranch_vccnz .LBB1_53
; %bb.52:                               ;   in Loop: Header=BB1_29 Depth=1
	v_cmp_gt_i32_e32 vcc_lo, 64, v19
	s_and_b32 s9, s8, 0x3fff
	s_add_i32 s9, s9, s6
	v_cndmask_b32_e64 v7, 0, s12, vcc_lo
	v_add3_u32 v7, v19, v7, 0xffffffc0
	s_add_i32 s13, s14, s13
	s_cbranch_execnz .LBB1_28
	s_branch .LBB1_54
.LBB1_53:                               ;   in Loop: Header=BB1_29 Depth=1
	s_andn2_b32 vcc_lo, exec_lo, s15
	s_add_i32 s13, s14, s13
	s_cbranch_vccnz .LBB1_28
.LBB1_54:                               ;   in Loop: Header=BB1_29 Depth=1
	s_and_saveexec_b32 s9, s4
	s_cbranch_execz .LBB1_27
; %bb.55:                               ;   in Loop: Header=BB1_29 Depth=1
	s_and_b32 s4, s8, 0x3fff
	v_mov_b32_e32 v9, s7
	s_add_i32 s14, s4, s6
	s_cmp_lg_u32 s4, 0
	v_mov_b32_e32 v19, 0
	s_cselect_b32 s4, s14, -1
	v_mov_b32_e32 v7, s6
	s_lshr_b32 s7, s8, 17
	v_mov_b32_e32 v8, s4
	v_mov_b32_e32 v10, s13
	;; [unrolled: 1-line block ×3, first 2 shown]
	ds_write_b8 v18, v9 offset:17064
	ds_write_b64 v18, v[7:8] offset:17056
	ds_write_b32 v18, v10 offset:17068
	ds_write_b16 v18, v11 offset:17066
	s_branch .LBB1_27
.LBB1_56:
	s_or_b32 exec_lo, exec_lo, s5
	v_mov_b32_e32 v3, 0
	s_and_saveexec_b32 s11, s4
	s_cbranch_execz .LBB1_19
.LBB1_57:
	v_add_nc_u32_e32 v5, 32, v0
	v_lshlrev_b64 v[3:4], v5, 1
	v_and_b32_e32 v7, s7, v4
	v_and_b32_e32 v6, s6, v3
	v_cmp_eq_u64_e64 s5, 0, v[6:7]
	v_cmp_ne_u64_e32 vcc_lo, 0, v[6:7]
	v_add_co_u32 v6, s4, v3, -1
	v_add_co_ci_u32_e64 v7, null, -1, v4, s4
	s_and_saveexec_b32 s4, vcc_lo
	s_cbranch_execz .LBB1_61
; %bb.58:
	v_and_b32_e32 v8, s6, v6
	v_and_b32_e32 v9, s7, v7
	s_mov_b32 s12, -1
	s_mov_b32 s13, exec_lo
	v_bcnt_u32_b32 v8, v8, 0
	v_bcnt_u32_b32 v9, v9, v8
	v_mov_b32_e32 v8, 0
	v_cmpx_eq_u32_e64 s51, v9
; %bb.59:
	s_xor_b32 s12, exec_lo, -1
	ds_write_b32 v8, v5 offset:16560
; %bb.60:
	s_or_b32 exec_lo, exec_lo, s13
	s_andn2_b32 s5, s5, exec_lo
	s_and_b32 s12, s12, exec_lo
	s_or_b32 s5, s5, s12
.LBB1_61:
	s_or_b32 exec_lo, exec_lo, s4
	s_mov_b32 s4, 0
                                        ; implicit-def: $sgpr13
	s_and_saveexec_b32 s12, s5
	s_cbranch_execz .LBB1_65
; %bb.62:
	s_load_dwordx2 s[4:5], s[36:37], 0x10
	s_mov_b32 s15, 0
	s_mov_b32 s14, exec_lo
                                        ; implicit-def: $sgpr13
	s_waitcnt lgkmcnt(0)
	v_and_b32_e32 v4, s5, v4
	v_and_b32_e32 v3, s4, v3
	v_cmpx_ne_u64_e32 0, v[3:4]
	s_xor_b32 s14, exec_lo, s14
	s_cbranch_execz .LBB1_64
; %bb.63:
	v_and_b32_e32 v3, s4, v6
	v_and_b32_e32 v4, s5, v7
	s_bcnt1_i32_b64 s13, s[6:7]
	v_bcnt_u32_b32 v3, v3, 0
	v_bcnt_u32_b32 v3, v4, v3
	v_add_nc_u32_e32 v3, s13, v3
	v_cmp_eq_u32_e32 vcc_lo, s51, v3
	s_and_b32 s15, vcc_lo, exec_lo
.LBB1_64:
	s_or_b32 exec_lo, exec_lo, s14
	s_and_b32 s4, s15, exec_lo
.LBB1_65:
	s_or_b32 exec_lo, exec_lo, s12
	v_mov_b32_e32 v3, s13
	s_andn2_b32 s5, s10, exec_lo
	s_and_b32 s4, s4, exec_lo
	s_or_b32 s10, s5, s4
	s_or_b32 exec_lo, exec_lo, s11
	s_and_saveexec_b32 s4, s10
	s_cbranch_execnz .LBB1_20
	s_branch .LBB1_21
.LBB1_66:
	s_andn2_saveexec_b32 s4, s11
	s_cbranch_execz .LBB1_70
; %bb.67:
	s_mov_b32 s5, exec_lo
	v_cmpx_gt_u32_e32 56, v0
	s_cbranch_execz .LBB1_69
; %bb.68:
	v_mov_b32_e32 v3, 0
	v_lshlrev_b32_e32 v7, 4, v0
	ds_read_b32 v5, v3 offset:16560
	ds_read_b64 v[3:4], v3 offset:16512
	v_add_nc_u32_e32 v8, 0xfffffe00, v7
	v_ashrrev_i32_e32 v9, 31, v8
	s_waitcnt lgkmcnt(1)
	v_mul_lo_u32 v6, 0x180, v5
	v_mul_hi_i32 v5, 0x180, v5
	s_waitcnt lgkmcnt(0)
	v_add_co_u32 v3, vcc_lo, v3, v6
	v_add_co_ci_u32_e64 v4, null, v4, v5, vcc_lo
	v_add_co_u32 v3, vcc_lo, v3, v8
	v_add_co_ci_u32_e64 v4, null, v4, v9, vcc_lo
	flat_load_dwordx4 v[3:6], v[3:4] offset:96
	s_waitcnt vmcnt(0) lgkmcnt(0)
	ds_write_b128 v7, v[3:6] offset:16160
.LBB1_69:
	s_or_b32 exec_lo, exec_lo, s5
.LBB1_70:
	s_or_b32 exec_lo, exec_lo, s4
.LBB1_71:
	s_andn2_saveexec_b32 s4, s10
	s_cbranch_execz .LBB1_75
; %bb.72:
	s_mov_b32 s5, exec_lo
	v_cmpx_gt_u32_e32 6, v0
	s_cbranch_execz .LBB1_74
; %bb.73:
	v_mov_b32_e32 v3, 0
	v_lshlrev_b32_e32 v7, 4, v0
	ds_read_b64 v[3:4], v3 offset:16512
	s_waitcnt lgkmcnt(0)
	v_add_co_u32 v3, vcc_lo, v3, v7
	v_add_co_ci_u32_e64 v4, null, 0, v4, vcc_lo
	flat_load_dwordx4 v[3:6], v[3:4]
	s_waitcnt vmcnt(0) lgkmcnt(0)
	ds_write_b128 v7, v[3:6] offset:16576
.LBB1_74:
	s_or_b32 exec_lo, exec_lo, s5
.LBB1_75:
	s_or_b32 exec_lo, exec_lo, s4
	v_mov_b32_e32 v41, 0
	s_waitcnt lgkmcnt(0)
	s_barrier
	buffer_gl0_inv
	ds_read_b32 v3, v41 offset:16564
	s_waitcnt lgkmcnt(0)
	v_cmp_ne_u32_e32 vcc_lo, 0, v3
	s_cbranch_vccz .LBB1_88
.LBB1_76:
	s_and_saveexec_b32 s4, s52
	s_cbranch_execz .LBB1_87
; %bb.77:
	v_mov_b32_e32 v6, 0
	ds_read_b32 v7, v6 offset:17068
	ds_read_b64 v[2:3], v6 offset:17040
	s_waitcnt lgkmcnt(1)
	v_ashrrev_i32_e32 v5, 31, v7
	s_waitcnt lgkmcnt(0)
	v_add_co_u32 v0, vcc_lo, v2, 1
	v_add_co_ci_u32_e64 v1, null, 0, v3, vcc_lo
	v_add_co_u32 v4, vcc_lo, v2, v7
	v_add_co_ci_u32_e64 v5, null, v3, v5, vcc_lo
	v_cmp_gt_u64_e32 vcc_lo, v[0:1], v[4:5]
	s_cbranch_vccnz .LBB1_86
; %bb.78:
	ds_read_u8 v8, v6 offset:17064
	s_movk_i32 s4, 0x4f0e
	s_movk_i32 s5, 0x4eda
	s_branch .LBB1_80
.LBB1_79:                               ;   in Loop: Header=BB1_80 Depth=1
	s_waitcnt lgkmcnt(0)
	v_ashrrev_i32_e32 v5, 31, v7
	v_add_co_u32 v0, vcc_lo, v0, 1
	v_add_co_ci_u32_e64 v1, null, 0, v1, vcc_lo
	v_add_co_u32 v4, vcc_lo, v2, v7
	v_add_co_ci_u32_e64 v5, null, v3, v5, vcc_lo
	s_add_i32 s4, s4, 64
	s_addk_i32 s5, 0x80
	v_cmp_le_u64_e32 vcc_lo, v[0:1], v[4:5]
	s_cbranch_vccz .LBB1_86
.LBB1_80:                               ; =>This Inner Loop Header: Depth=1
	s_waitcnt lgkmcnt(0)
	v_cmp_ne_u32_sdwa s6, v8, v6 src0_sel:BYTE_0 src1_sel:DWORD
	s_and_b32 vcc_lo, exec_lo, s6
	s_cbranch_vccz .LBB1_85
; %bb.81:                               ;   in Loop: Header=BB1_80 Depth=1
	v_mov_b32_e32 v4, s5
	ds_read_u8 v4, v4
	s_waitcnt lgkmcnt(0)
	v_and_b32_e32 v4, 1, v4
	s_cbranch_execnz .LBB1_83
.LBB1_82:                               ;   in Loop: Header=BB1_80 Depth=1
	v_mov_b32_e32 v4, s4
	ds_read_u16 v4, v4
	s_waitcnt lgkmcnt(0)
	v_bfe_u32 v4, v4, 6, 1
.LBB1_83:                               ;   in Loop: Header=BB1_80 Depth=1
	v_cmp_eq_u32_e32 vcc_lo, 0, v4
	s_cbranch_vccnz .LBB1_79
; %bb.84:                               ;   in Loop: Header=BB1_80 Depth=1
	s_memrealtime s[6:7]
	ds_read_u8 v8, v6 offset:17064
	ds_read_b32 v2, v6 offset:16560
	ds_read_b64 v[4:5], v6 offset:16664
	v_and_b32_e32 v7, 63, v0
	v_lshlrev_b32_e32 v7, 4, v7
	s_waitcnt lgkmcnt(0)
	v_ashrrev_i32_e32 v3, 31, v2
	v_lshlrev_b64 v[9:10], 10, v[2:3]
	v_mov_b32_e32 v2, s6
	v_mov_b32_e32 v3, s7
	v_add_co_u32 v4, vcc_lo, v4, v9
	v_add_co_ci_u32_e64 v5, null, v5, v10, vcc_lo
	v_add_co_u32 v4, vcc_lo, v4, v7
	v_add_co_ci_u32_e64 v5, null, 0, v5, vcc_lo
	flat_store_dwordx4 v[4:5], v[0:3]
	ds_read_b64 v[2:3], v6 offset:17040
	ds_read_b32 v7, v6 offset:17068
	s_branch .LBB1_79
.LBB1_85:                               ;   in Loop: Header=BB1_80 Depth=1
                                        ; implicit-def: $vgpr4
	s_branch .LBB1_82
.LBB1_86:
	v_mov_b32_e32 v2, 0
	ds_read_b32 v3, v2 offset:16560
	ds_read_b64 v[0:1], v2 offset:16512
	ds_write_b64 v2, v[4:5] offset:17040
	s_waitcnt lgkmcnt(2)
	v_mul_lo_u32 v6, 0x180, v3
	v_mul_hi_i32 v3, 0x180, v3
	s_waitcnt lgkmcnt(1)
	v_add_co_u32 v0, vcc_lo, v0, v6
	v_add_co_ci_u32_e64 v1, null, v1, v3, vcc_lo
	flat_store_dwordx2 v[0:1], v[4:5] offset:464
.LBB1_87:
	s_endpgm
.LBB1_88:
	v_and_b32_e32 v44, 31, v0
	v_lshlrev_b32_e32 v2, 20, v2
	v_lshlrev_b32_e32 v1, 10, v1
	v_cmp_eq_u32_e32 vcc_lo, 1, v12
	v_cmp_gt_u32_e64 s4, 40, v0
	s_movk_i32 s5, 0x160
	v_cmp_eq_u32_e64 s53, 32, v0
	v_mad_u32_u24 v43, v0, s5, 0x17d8
	v_mul_u32_u24_e32 v45, 0x810, v12
	v_lshlrev_b32_e64 v46, v0, 1
	v_bfm_b32 v47, v44, 0
	v_or_b32_e32 v56, 32, v44
	v_or3_b32 v40, v0, v1, v2
	v_mov_b32_e32 v57, 0x58
	s_and_b32 s55, vcc_lo, s4
	s_branch .LBB1_90
.LBB1_89:                               ;   in Loop: Header=BB1_90 Depth=1
	s_waitcnt lgkmcnt(0)
	s_waitcnt_vscnt null, 0x0
	s_barrier
	buffer_gl0_inv
	ds_read_b32 v0, v41 offset:16564
	s_waitcnt lgkmcnt(0)
	v_cmp_ne_u32_e64 s4, 0, v0
	s_and_b32 vcc_lo, exec_lo, s4
	s_cbranch_vccnz .LBB1_76
.LBB1_90:                               ; =>This Loop Header: Depth=1
                                        ;     Child Loop BB1_94 Depth 2
                                        ;     Child Loop BB1_585 Depth 2
	;; [unrolled: 1-line block ×3, first 2 shown]
	s_and_saveexec_b32 s4, s52
	s_cbranch_execz .LBB1_100
; %bb.91:                               ;   in Loop: Header=BB1_90 Depth=1
	ds_read_b32 v4, v41 offset:17068
	ds_read_b64 v[2:3], v41 offset:17040
	s_waitcnt lgkmcnt(1)
	v_ashrrev_i32_e32 v6, 31, v4
	s_waitcnt lgkmcnt(0)
	v_add_co_u32 v0, vcc_lo, v2, 1
	v_add_co_ci_u32_e64 v1, null, 0, v3, vcc_lo
	v_add_co_u32 v5, vcc_lo, v2, v4
	v_add_co_ci_u32_e64 v6, null, v3, v6, vcc_lo
	v_cmp_gt_u64_e32 vcc_lo, v[0:1], v[5:6]
	s_cbranch_vccnz .LBB1_100
; %bb.92:                               ;   in Loop: Header=BB1_90 Depth=1
	ds_read_u8 v5, v41 offset:17064
	s_movk_i32 s5, 0x4f0e
	s_movk_i32 s6, 0x4eda
	s_branch .LBB1_94
.LBB1_93:                               ;   in Loop: Header=BB1_94 Depth=2
	s_waitcnt lgkmcnt(0)
	v_ashrrev_i32_e32 v7, 31, v4
	v_add_co_u32 v0, vcc_lo, v0, 1
	v_add_co_ci_u32_e64 v1, null, 0, v1, vcc_lo
	v_add_co_u32 v6, vcc_lo, v2, v4
	v_add_co_ci_u32_e64 v7, null, v3, v7, vcc_lo
	s_add_i32 s5, s5, 64
	s_addk_i32 s6, 0x80
	v_cmp_le_u64_e32 vcc_lo, v[0:1], v[6:7]
	s_cbranch_vccz .LBB1_100
.LBB1_94:                               ;   Parent Loop BB1_90 Depth=1
                                        ; =>  This Inner Loop Header: Depth=2
	s_waitcnt lgkmcnt(0)
	v_cmp_ne_u32_sdwa s7, v5, v41 src0_sel:BYTE_0 src1_sel:DWORD
	s_and_b32 vcc_lo, exec_lo, s7
	s_cbranch_vccz .LBB1_99
; %bb.95:                               ;   in Loop: Header=BB1_94 Depth=2
	v_mov_b32_e32 v6, s6
	ds_read_u8 v6, v6
	s_waitcnt lgkmcnt(0)
	v_and_b32_e32 v6, 1, v6
	s_cbranch_execnz .LBB1_97
.LBB1_96:                               ;   in Loop: Header=BB1_94 Depth=2
	v_mov_b32_e32 v6, s5
	ds_read_u16 v6, v6
	s_waitcnt lgkmcnt(0)
	v_bfe_u32 v6, v6, 6, 1
.LBB1_97:                               ;   in Loop: Header=BB1_94 Depth=2
	v_cmp_eq_u32_e32 vcc_lo, 0, v6
	s_cbranch_vccnz .LBB1_93
; %bb.98:                               ;   in Loop: Header=BB1_94 Depth=2
	s_memrealtime s[8:9]
	ds_read_u8 v5, v41 offset:17064
	ds_read_b32 v2, v41 offset:16560
	ds_read_b64 v[6:7], v41 offset:16656
	v_and_b32_e32 v8, 63, v0
	v_lshlrev_b32_e32 v8, 4, v8
	s_waitcnt lgkmcnt(0)
	v_ashrrev_i32_e32 v3, 31, v2
	v_lshlrev_b64 v[3:4], 10, v[2:3]
	v_mov_b32_e32 v2, s8
	v_add_co_u32 v6, vcc_lo, v6, v3
	v_add_co_ci_u32_e64 v4, null, v7, v4, vcc_lo
	v_mov_b32_e32 v3, s9
	v_add_co_u32 v6, vcc_lo, v6, v8
	v_add_co_ci_u32_e64 v7, null, 0, v4, vcc_lo
	flat_store_dwordx4 v[6:7], v[0:3]
	ds_read_b64 v[2:3], v41 offset:17040
	ds_read_b32 v4, v41 offset:17068
	s_branch .LBB1_93
.LBB1_99:                               ;   in Loop: Header=BB1_94 Depth=2
                                        ; implicit-def: $vgpr6
	s_branch .LBB1_96
.LBB1_100:                              ;   in Loop: Header=BB1_90 Depth=1
	s_or_b32 exec_lo, exec_lo, s4
	ds_read_u16 v0, v41 offset:17066
	s_waitcnt lgkmcnt(0)
	v_cmp_gt_u32_sdwa s4, v0, v57 src0_sel:WORD_0 src1_sel:DWORD
	v_readfirstlane_b32 s64, v0
	s_and_b32 vcc_lo, exec_lo, s4
	s_mov_b32 s4, -1
	s_cbranch_vccz .LBB1_265
; %bb.101:                              ;   in Loop: Header=BB1_90 Depth=1
	s_and_b32 s65, 0xffff, s64
	s_cmpk_gt_u32 s65, 0x85
	s_cbranch_scc0 .LBB1_180
; %bb.102:                              ;   in Loop: Header=BB1_90 Depth=1
	s_cmpk_gt_u32 s65, 0x9b
	s_cbranch_scc0 .LBB1_142
; %bb.103:                              ;   in Loop: Header=BB1_90 Depth=1
	;; [unrolled: 3-line block ×6, first 2 shown]
	v_mov_b32_e32 v31, v40
	s_add_u32 s8, s36, 0x1000
	s_addc_u32 s9, s37, 0
	s_getpc_b64 s[16:17]
	s_add_u32 s16, s16, _Z50ncclDevFunc_AlltoAllPivot_RING_SIMPLE_Sum_i8_0_0_2v@rel32@lo+4
	s_addc_u32 s17, s17, _Z50ncclDevFunc_AlltoAllPivot_RING_SIMPLE_Sum_i8_0_0_2v@rel32@hi+12
	s_mov_b64 s[4:5], s[48:49]
	s_mov_b64 s[6:7], s[38:39]
	;; [unrolled: 1-line block ×3, first 2 shown]
	s_mov_b32 s12, s51
	s_mov_b32 s13, s50
	;; [unrolled: 1-line block ×3, first 2 shown]
	s_swappc_b64 s[30:31], s[16:17]
	s_mov_b32 s4, 0
.LBB1_108:                              ;   in Loop: Header=BB1_90 Depth=1
	s_andn2_b32 vcc_lo, exec_lo, s4
	s_cbranch_vccnz .LBB1_110
; %bb.109:                              ;   in Loop: Header=BB1_90 Depth=1
	v_mov_b32_e32 v31, v40
	s_add_u32 s8, s36, 0x1000
	s_addc_u32 s9, s37, 0
	s_getpc_b64 s[16:17]
	s_add_u32 s16, s16, _Z45ncclDevFunc_SendRecv_RING_SIMPLE_Sum_i8_0_0_2v@rel32@lo+4
	s_addc_u32 s17, s17, _Z45ncclDevFunc_SendRecv_RING_SIMPLE_Sum_i8_0_0_2v@rel32@hi+12
	s_mov_b64 s[4:5], s[48:49]
	s_mov_b64 s[6:7], s[38:39]
	;; [unrolled: 1-line block ×3, first 2 shown]
	s_mov_b32 s12, s51
	s_mov_b32 s13, s50
	;; [unrolled: 1-line block ×3, first 2 shown]
	s_swappc_b64 s[30:31], s[16:17]
.LBB1_110:                              ;   in Loop: Header=BB1_90 Depth=1
	s_mov_b32 s4, 0
.LBB1_111:                              ;   in Loop: Header=BB1_90 Depth=1
	s_andn2_b32 vcc_lo, exec_lo, s4
	s_cbranch_vccnz .LBB1_116
; %bb.112:                              ;   in Loop: Header=BB1_90 Depth=1
	s_cmpk_lg_i32 s65, 0xad
	s_mov_b32 s4, -1
	s_cbranch_scc0 .LBB1_114
; %bb.113:                              ;   in Loop: Header=BB1_90 Depth=1
	v_mov_b32_e32 v31, v40
	s_add_u32 s8, s36, 0x1000
	s_addc_u32 s9, s37, 0
	s_getpc_b64 s[16:17]
	s_add_u32 s16, s16, _Z54ncclDevFunc_AllReduce_RING_SIMPLE_SumPostDiv_u64_0_0_2v@rel32@lo+4
	s_addc_u32 s17, s17, _Z54ncclDevFunc_AllReduce_RING_SIMPLE_SumPostDiv_u64_0_0_2v@rel32@hi+12
	s_mov_b64 s[4:5], s[48:49]
	s_mov_b64 s[6:7], s[38:39]
	;; [unrolled: 1-line block ×3, first 2 shown]
	s_mov_b32 s12, s51
	s_mov_b32 s13, s50
	;; [unrolled: 1-line block ×3, first 2 shown]
	s_swappc_b64 s[30:31], s[16:17]
	s_mov_b32 s4, 0
.LBB1_114:                              ;   in Loop: Header=BB1_90 Depth=1
	s_andn2_b32 vcc_lo, exec_lo, s4
	s_cbranch_vccnz .LBB1_116
; %bb.115:                              ;   in Loop: Header=BB1_90 Depth=1
	v_mov_b32_e32 v31, v40
	s_add_u32 s8, s36, 0x1000
	s_addc_u32 s9, s37, 0
	s_getpc_b64 s[16:17]
	s_add_u32 s16, s16, _Z54ncclDevFunc_AllReduce_RING_SIMPLE_SumPostDiv_u32_0_0_2v@rel32@lo+4
	s_addc_u32 s17, s17, _Z54ncclDevFunc_AllReduce_RING_SIMPLE_SumPostDiv_u32_0_0_2v@rel32@hi+12
	s_mov_b64 s[4:5], s[48:49]
	s_mov_b64 s[6:7], s[38:39]
	;; [unrolled: 1-line block ×3, first 2 shown]
	s_mov_b32 s12, s51
	s_mov_b32 s13, s50
	;; [unrolled: 1-line block ×3, first 2 shown]
	s_swappc_b64 s[30:31], s[16:17]
.LBB1_116:                              ;   in Loop: Header=BB1_90 Depth=1
	s_mov_b32 s4, 0
.LBB1_117:                              ;   in Loop: Header=BB1_90 Depth=1
	s_andn2_b32 vcc_lo, exec_lo, s4
	s_cbranch_vccnz .LBB1_125
; %bb.118:                              ;   in Loop: Header=BB1_90 Depth=1
	s_cmpk_gt_u32 s65, 0xa9
	s_mov_b32 s4, -1
	s_cbranch_scc0 .LBB1_120
; %bb.119:                              ;   in Loop: Header=BB1_90 Depth=1
	v_mov_b32_e32 v31, v40
	s_add_u32 s8, s36, 0x1000
	s_addc_u32 s9, s37, 0
	s_getpc_b64 s[16:17]
	s_add_u32 s16, s16, _Z53ncclDevFunc_AllReduce_RING_SIMPLE_SumPostDiv_u8_0_0_2v@rel32@lo+4
	s_addc_u32 s17, s17, _Z53ncclDevFunc_AllReduce_RING_SIMPLE_SumPostDiv_u8_0_0_2v@rel32@hi+12
	s_mov_b64 s[4:5], s[48:49]
	s_mov_b64 s[6:7], s[38:39]
	;; [unrolled: 1-line block ×3, first 2 shown]
	s_mov_b32 s12, s51
	s_mov_b32 s13, s50
	;; [unrolled: 1-line block ×3, first 2 shown]
	s_swappc_b64 s[30:31], s[16:17]
	s_mov_b32 s4, 0
.LBB1_120:                              ;   in Loop: Header=BB1_90 Depth=1
	s_andn2_b32 vcc_lo, exec_lo, s4
	s_cbranch_vccnz .LBB1_125
; %bb.121:                              ;   in Loop: Header=BB1_90 Depth=1
	s_cmpk_lg_i32 s65, 0xa7
	s_mov_b32 s4, -1
	s_cbranch_scc0 .LBB1_123
; %bb.122:                              ;   in Loop: Header=BB1_90 Depth=1
	v_mov_b32_e32 v31, v40
	s_add_u32 s8, s36, 0x1000
	s_addc_u32 s9, s37, 0
	s_getpc_b64 s[16:17]
	s_add_u32 s16, s16, _Z56ncclDevFunc_AllReduce_RING_SIMPLE_PreMulSum_f8e5m2_0_0_2v@rel32@lo+4
	s_addc_u32 s17, s17, _Z56ncclDevFunc_AllReduce_RING_SIMPLE_PreMulSum_f8e5m2_0_0_2v@rel32@hi+12
	s_mov_b64 s[4:5], s[48:49]
	s_mov_b64 s[6:7], s[38:39]
	s_mov_b64 s[10:11], s[34:35]
	s_mov_b32 s12, s51
	s_mov_b32 s13, s50
	;; [unrolled: 1-line block ×3, first 2 shown]
	s_swappc_b64 s[30:31], s[16:17]
	s_mov_b32 s4, 0
.LBB1_123:                              ;   in Loop: Header=BB1_90 Depth=1
	s_andn2_b32 vcc_lo, exec_lo, s4
	s_cbranch_vccnz .LBB1_125
; %bb.124:                              ;   in Loop: Header=BB1_90 Depth=1
	v_mov_b32_e32 v31, v40
	s_add_u32 s8, s36, 0x1000
	s_addc_u32 s9, s37, 0
	s_getpc_b64 s[16:17]
	s_add_u32 s16, s16, _Z56ncclDevFunc_AllReduce_RING_SIMPLE_PreMulSum_f8e4m3_0_0_2v@rel32@lo+4
	s_addc_u32 s17, s17, _Z56ncclDevFunc_AllReduce_RING_SIMPLE_PreMulSum_f8e4m3_0_0_2v@rel32@hi+12
	s_mov_b64 s[4:5], s[48:49]
	s_mov_b64 s[6:7], s[38:39]
	;; [unrolled: 1-line block ×3, first 2 shown]
	s_mov_b32 s12, s51
	s_mov_b32 s13, s50
	;; [unrolled: 1-line block ×3, first 2 shown]
	s_swappc_b64 s[30:31], s[16:17]
.LBB1_125:                              ;   in Loop: Header=BB1_90 Depth=1
	s_mov_b32 s4, 0
.LBB1_126:                              ;   in Loop: Header=BB1_90 Depth=1
	s_andn2_b32 vcc_lo, exec_lo, s4
	s_cbranch_vccnz .LBB1_141
; %bb.127:                              ;   in Loop: Header=BB1_90 Depth=1
	s_cmpk_gt_u32 s65, 0xa0
	s_mov_b32 s4, -1
	s_cbranch_scc0 .LBB1_136
; %bb.128:                              ;   in Loop: Header=BB1_90 Depth=1
	s_cmpk_gt_u32 s65, 0xa3
	s_cbranch_scc0 .LBB1_130
; %bb.129:                              ;   in Loop: Header=BB1_90 Depth=1
	v_mov_b32_e32 v31, v40
	s_add_u32 s8, s36, 0x1000
	s_addc_u32 s9, s37, 0
	s_getpc_b64 s[16:17]
	s_add_u32 s16, s16, _Z54ncclDevFunc_AllReduce_RING_SIMPLE_PreMulSum_bf16_0_1_2v@rel32@lo+4
	s_addc_u32 s17, s17, _Z54ncclDevFunc_AllReduce_RING_SIMPLE_PreMulSum_bf16_0_1_2v@rel32@hi+12
	s_mov_b64 s[4:5], s[48:49]
	s_mov_b64 s[6:7], s[38:39]
	;; [unrolled: 1-line block ×3, first 2 shown]
	s_mov_b32 s12, s51
	s_mov_b32 s13, s50
	;; [unrolled: 1-line block ×3, first 2 shown]
	s_swappc_b64 s[30:31], s[16:17]
	s_mov_b32 s4, 0
.LBB1_130:                              ;   in Loop: Header=BB1_90 Depth=1
	s_andn2_b32 vcc_lo, exec_lo, s4
	s_cbranch_vccnz .LBB1_135
; %bb.131:                              ;   in Loop: Header=BB1_90 Depth=1
	s_cmpk_lg_i32 s65, 0xa1
	s_mov_b32 s4, -1
	s_cbranch_scc0 .LBB1_133
; %bb.132:                              ;   in Loop: Header=BB1_90 Depth=1
	v_mov_b32_e32 v31, v40
	s_add_u32 s8, s36, 0x1000
	s_addc_u32 s9, s37, 0
	s_getpc_b64 s[16:17]
	s_add_u32 s16, s16, _Z54ncclDevFunc_AllReduce_RING_SIMPLE_PreMulSum_bf16_0_0_2v@rel32@lo+4
	s_addc_u32 s17, s17, _Z54ncclDevFunc_AllReduce_RING_SIMPLE_PreMulSum_bf16_0_0_2v@rel32@hi+12
	s_mov_b64 s[4:5], s[48:49]
	s_mov_b64 s[6:7], s[38:39]
	;; [unrolled: 1-line block ×3, first 2 shown]
	s_mov_b32 s12, s51
	s_mov_b32 s13, s50
	;; [unrolled: 1-line block ×3, first 2 shown]
	s_swappc_b64 s[30:31], s[16:17]
	s_mov_b32 s4, 0
.LBB1_133:                              ;   in Loop: Header=BB1_90 Depth=1
	s_andn2_b32 vcc_lo, exec_lo, s4
	s_cbranch_vccnz .LBB1_135
; %bb.134:                              ;   in Loop: Header=BB1_90 Depth=1
	v_mov_b32_e32 v31, v40
	s_add_u32 s8, s36, 0x1000
	s_addc_u32 s9, s37, 0
	s_getpc_b64 s[16:17]
	s_add_u32 s16, s16, _Z53ncclDevFunc_AllReduce_RING_SIMPLE_PreMulSum_f64_0_0_2v@rel32@lo+4
	s_addc_u32 s17, s17, _Z53ncclDevFunc_AllReduce_RING_SIMPLE_PreMulSum_f64_0_0_2v@rel32@hi+12
	s_mov_b64 s[4:5], s[48:49]
	s_mov_b64 s[6:7], s[38:39]
	;; [unrolled: 1-line block ×3, first 2 shown]
	s_mov_b32 s12, s51
	s_mov_b32 s13, s50
	;; [unrolled: 1-line block ×3, first 2 shown]
	s_swappc_b64 s[30:31], s[16:17]
.LBB1_135:                              ;   in Loop: Header=BB1_90 Depth=1
	s_mov_b32 s4, 0
.LBB1_136:                              ;   in Loop: Header=BB1_90 Depth=1
	s_andn2_b32 vcc_lo, exec_lo, s4
	s_cbranch_vccnz .LBB1_141
; %bb.137:                              ;   in Loop: Header=BB1_90 Depth=1
	s_cmpk_gt_u32 s65, 0x9d
	s_mov_b32 s4, -1
	s_cbranch_scc0 .LBB1_139
; %bb.138:                              ;   in Loop: Header=BB1_90 Depth=1
	v_mov_b32_e32 v31, v40
	s_add_u32 s8, s36, 0x1000
	s_addc_u32 s9, s37, 0
	s_getpc_b64 s[16:17]
	s_add_u32 s16, s16, _Z53ncclDevFunc_AllReduce_RING_SIMPLE_PreMulSum_f32_0_0_2v@rel32@lo+4
	s_addc_u32 s17, s17, _Z53ncclDevFunc_AllReduce_RING_SIMPLE_PreMulSum_f32_0_0_2v@rel32@hi+12
	s_mov_b64 s[4:5], s[48:49]
	s_mov_b64 s[6:7], s[38:39]
	;; [unrolled: 1-line block ×3, first 2 shown]
	s_mov_b32 s12, s51
	s_mov_b32 s13, s50
	;; [unrolled: 1-line block ×3, first 2 shown]
	s_swappc_b64 s[30:31], s[16:17]
	s_mov_b32 s4, 0
.LBB1_139:                              ;   in Loop: Header=BB1_90 Depth=1
	s_andn2_b32 vcc_lo, exec_lo, s4
	s_cbranch_vccnz .LBB1_141
; %bb.140:                              ;   in Loop: Header=BB1_90 Depth=1
	v_mov_b32_e32 v31, v40
	s_add_u32 s8, s36, 0x1000
	s_addc_u32 s9, s37, 0
	s_getpc_b64 s[16:17]
	s_add_u32 s16, s16, _Z53ncclDevFunc_AllReduce_RING_SIMPLE_PreMulSum_f16_0_0_2v@rel32@lo+4
	s_addc_u32 s17, s17, _Z53ncclDevFunc_AllReduce_RING_SIMPLE_PreMulSum_f16_0_0_2v@rel32@hi+12
	s_mov_b64 s[4:5], s[48:49]
	s_mov_b64 s[6:7], s[38:39]
	;; [unrolled: 1-line block ×3, first 2 shown]
	s_mov_b32 s12, s51
	s_mov_b32 s13, s50
	;; [unrolled: 1-line block ×3, first 2 shown]
	s_swappc_b64 s[30:31], s[16:17]
.LBB1_141:                              ;   in Loop: Header=BB1_90 Depth=1
	s_mov_b32 s4, 0
.LBB1_142:                              ;   in Loop: Header=BB1_90 Depth=1
	s_andn2_b32 vcc_lo, exec_lo, s4
	s_cbranch_vccnz .LBB1_179
; %bb.143:                              ;   in Loop: Header=BB1_90 Depth=1
	s_cmpk_gt_u32 s65, 0x90
	s_mov_b32 s4, -1
	s_cbranch_scc0 .LBB1_160
; %bb.144:                              ;   in Loop: Header=BB1_90 Depth=1
	s_cmpk_gt_u32 s65, 0x95
	s_cbranch_scc0 .LBB1_154
; %bb.145:                              ;   in Loop: Header=BB1_90 Depth=1
	s_cmpk_gt_u32 s65, 0x98
	s_cbranch_scc0 .LBB1_151
; %bb.146:                              ;   in Loop: Header=BB1_90 Depth=1
	s_cmpk_lg_i32 s65, 0x99
	s_cbranch_scc0 .LBB1_148
; %bb.147:                              ;   in Loop: Header=BB1_90 Depth=1
	v_mov_b32_e32 v31, v40
	s_add_u32 s8, s36, 0x1000
	s_addc_u32 s9, s37, 0
	s_getpc_b64 s[16:17]
	s_add_u32 s16, s16, _Z53ncclDevFunc_AllReduce_RING_SIMPLE_PreMulSum_u64_0_0_2v@rel32@lo+4
	s_addc_u32 s17, s17, _Z53ncclDevFunc_AllReduce_RING_SIMPLE_PreMulSum_u64_0_0_2v@rel32@hi+12
	s_mov_b64 s[4:5], s[48:49]
	s_mov_b64 s[6:7], s[38:39]
	;; [unrolled: 1-line block ×3, first 2 shown]
	s_mov_b32 s12, s51
	s_mov_b32 s13, s50
	;; [unrolled: 1-line block ×3, first 2 shown]
	s_swappc_b64 s[30:31], s[16:17]
	s_mov_b32 s4, 0
.LBB1_148:                              ;   in Loop: Header=BB1_90 Depth=1
	s_andn2_b32 vcc_lo, exec_lo, s4
	s_cbranch_vccnz .LBB1_150
; %bb.149:                              ;   in Loop: Header=BB1_90 Depth=1
	v_mov_b32_e32 v31, v40
	s_add_u32 s8, s36, 0x1000
	s_addc_u32 s9, s37, 0
	s_getpc_b64 s[16:17]
	s_add_u32 s16, s16, _Z53ncclDevFunc_AllReduce_RING_SIMPLE_PreMulSum_u32_0_0_2v@rel32@lo+4
	s_addc_u32 s17, s17, _Z53ncclDevFunc_AllReduce_RING_SIMPLE_PreMulSum_u32_0_0_2v@rel32@hi+12
	s_mov_b64 s[4:5], s[48:49]
	s_mov_b64 s[6:7], s[38:39]
	;; [unrolled: 1-line block ×3, first 2 shown]
	s_mov_b32 s12, s51
	s_mov_b32 s13, s50
	;; [unrolled: 1-line block ×3, first 2 shown]
	s_swappc_b64 s[30:31], s[16:17]
.LBB1_150:                              ;   in Loop: Header=BB1_90 Depth=1
	s_mov_b32 s4, 0
.LBB1_151:                              ;   in Loop: Header=BB1_90 Depth=1
	s_andn2_b32 vcc_lo, exec_lo, s4
	s_cbranch_vccnz .LBB1_153
; %bb.152:                              ;   in Loop: Header=BB1_90 Depth=1
	v_mov_b32_e32 v31, v40
	s_add_u32 s8, s36, 0x1000
	s_addc_u32 s9, s37, 0
	s_getpc_b64 s[16:17]
	s_add_u32 s16, s16, _Z52ncclDevFunc_AllReduce_RING_SIMPLE_PreMulSum_u8_0_0_2v@rel32@lo+4
	s_addc_u32 s17, s17, _Z52ncclDevFunc_AllReduce_RING_SIMPLE_PreMulSum_u8_0_0_2v@rel32@hi+12
	s_mov_b64 s[4:5], s[48:49]
	s_mov_b64 s[6:7], s[38:39]
	;; [unrolled: 1-line block ×3, first 2 shown]
	s_mov_b32 s12, s51
	s_mov_b32 s13, s50
	;; [unrolled: 1-line block ×3, first 2 shown]
	s_swappc_b64 s[30:31], s[16:17]
.LBB1_153:                              ;   in Loop: Header=BB1_90 Depth=1
	s_mov_b32 s4, 0
.LBB1_154:                              ;   in Loop: Header=BB1_90 Depth=1
	s_andn2_b32 vcc_lo, exec_lo, s4
	s_cbranch_vccnz .LBB1_159
; %bb.155:                              ;   in Loop: Header=BB1_90 Depth=1
	s_cmpk_gt_u32 s65, 0x93
	s_mov_b32 s4, -1
	s_cbranch_scc0 .LBB1_157
; %bb.156:                              ;   in Loop: Header=BB1_90 Depth=1
	v_mov_b32_e32 v31, v40
	s_add_u32 s8, s36, 0x1000
	s_addc_u32 s9, s37, 0
	s_getpc_b64 s[16:17]
	s_add_u32 s16, s16, _Z53ncclDevFunc_AllReduce_RING_SIMPLE_MinMax_f8e5m2_0_0_2v@rel32@lo+4
	s_addc_u32 s17, s17, _Z53ncclDevFunc_AllReduce_RING_SIMPLE_MinMax_f8e5m2_0_0_2v@rel32@hi+12
	s_mov_b64 s[4:5], s[48:49]
	s_mov_b64 s[6:7], s[38:39]
	;; [unrolled: 1-line block ×3, first 2 shown]
	s_mov_b32 s12, s51
	s_mov_b32 s13, s50
	;; [unrolled: 1-line block ×3, first 2 shown]
	s_swappc_b64 s[30:31], s[16:17]
	s_mov_b32 s4, 0
.LBB1_157:                              ;   in Loop: Header=BB1_90 Depth=1
	s_andn2_b32 vcc_lo, exec_lo, s4
	s_cbranch_vccnz .LBB1_159
; %bb.158:                              ;   in Loop: Header=BB1_90 Depth=1
	v_mov_b32_e32 v31, v40
	s_add_u32 s8, s36, 0x1000
	s_addc_u32 s9, s37, 0
	s_getpc_b64 s[16:17]
	s_add_u32 s16, s16, _Z53ncclDevFunc_AllReduce_RING_SIMPLE_MinMax_f8e4m3_0_0_2v@rel32@lo+4
	s_addc_u32 s17, s17, _Z53ncclDevFunc_AllReduce_RING_SIMPLE_MinMax_f8e4m3_0_0_2v@rel32@hi+12
	s_mov_b64 s[4:5], s[48:49]
	s_mov_b64 s[6:7], s[38:39]
	;; [unrolled: 1-line block ×3, first 2 shown]
	s_mov_b32 s12, s51
	s_mov_b32 s13, s50
	;; [unrolled: 1-line block ×3, first 2 shown]
	s_swappc_b64 s[30:31], s[16:17]
.LBB1_159:                              ;   in Loop: Header=BB1_90 Depth=1
	s_mov_b32 s4, 0
.LBB1_160:                              ;   in Loop: Header=BB1_90 Depth=1
	s_andn2_b32 vcc_lo, exec_lo, s4
	s_cbranch_vccnz .LBB1_179
; %bb.161:                              ;   in Loop: Header=BB1_90 Depth=1
	s_cmpk_gt_u32 s65, 0x8a
	s_mov_b32 s4, -1
	s_cbranch_scc0 .LBB1_174
; %bb.162:                              ;   in Loop: Header=BB1_90 Depth=1
	s_cmpk_gt_u32 s65, 0x8d
	s_cbranch_scc0 .LBB1_168
; %bb.163:                              ;   in Loop: Header=BB1_90 Depth=1
	s_cmpk_eq_i32 s65, 0x90
	s_cbranch_scc1 .LBB1_165
; %bb.164:                              ;   in Loop: Header=BB1_90 Depth=1
	v_mov_b32_e32 v31, v40
	s_add_u32 s8, s36, 0x1000
	s_addc_u32 s9, s37, 0
	s_getpc_b64 s[16:17]
	s_add_u32 s16, s16, _Z51ncclDevFunc_AllReduce_RING_SIMPLE_MinMax_bf16_0_0_2v@rel32@lo+4
	s_addc_u32 s17, s17, _Z51ncclDevFunc_AllReduce_RING_SIMPLE_MinMax_bf16_0_0_2v@rel32@hi+12
	s_mov_b64 s[4:5], s[48:49]
	s_mov_b64 s[6:7], s[38:39]
	;; [unrolled: 1-line block ×3, first 2 shown]
	s_mov_b32 s12, s51
	s_mov_b32 s13, s50
	;; [unrolled: 1-line block ×3, first 2 shown]
	s_swappc_b64 s[30:31], s[16:17]
	s_mov_b32 s4, 0
.LBB1_165:                              ;   in Loop: Header=BB1_90 Depth=1
	s_andn2_b32 vcc_lo, exec_lo, s4
	s_cbranch_vccnz .LBB1_167
; %bb.166:                              ;   in Loop: Header=BB1_90 Depth=1
	v_mov_b32_e32 v31, v40
	s_add_u32 s8, s36, 0x1000
	s_addc_u32 s9, s37, 0
	s_getpc_b64 s[16:17]
	s_add_u32 s16, s16, _Z51ncclDevFunc_AllReduce_RING_SIMPLE_MinMax_bf16_0_1_2v@rel32@lo+4
	s_addc_u32 s17, s17, _Z51ncclDevFunc_AllReduce_RING_SIMPLE_MinMax_bf16_0_1_2v@rel32@hi+12
	s_mov_b64 s[4:5], s[48:49]
	s_mov_b64 s[6:7], s[38:39]
	;; [unrolled: 1-line block ×3, first 2 shown]
	s_mov_b32 s12, s51
	s_mov_b32 s13, s50
	;; [unrolled: 1-line block ×3, first 2 shown]
	s_swappc_b64 s[30:31], s[16:17]
.LBB1_167:                              ;   in Loop: Header=BB1_90 Depth=1
	s_mov_b32 s4, 0
.LBB1_168:                              ;   in Loop: Header=BB1_90 Depth=1
	s_andn2_b32 vcc_lo, exec_lo, s4
	s_cbranch_vccnz .LBB1_173
; %bb.169:                              ;   in Loop: Header=BB1_90 Depth=1
	s_cmpk_lg_i32 s65, 0x8b
	s_mov_b32 s4, -1
	s_cbranch_scc0 .LBB1_171
; %bb.170:                              ;   in Loop: Header=BB1_90 Depth=1
	v_mov_b32_e32 v31, v40
	s_add_u32 s8, s36, 0x1000
	s_addc_u32 s9, s37, 0
	s_getpc_b64 s[16:17]
	s_add_u32 s16, s16, _Z50ncclDevFunc_AllReduce_RING_SIMPLE_MinMax_f64_0_0_2v@rel32@lo+4
	s_addc_u32 s17, s17, _Z50ncclDevFunc_AllReduce_RING_SIMPLE_MinMax_f64_0_0_2v@rel32@hi+12
	s_mov_b64 s[4:5], s[48:49]
	s_mov_b64 s[6:7], s[38:39]
	;; [unrolled: 1-line block ×3, first 2 shown]
	s_mov_b32 s12, s51
	s_mov_b32 s13, s50
	;; [unrolled: 1-line block ×3, first 2 shown]
	s_swappc_b64 s[30:31], s[16:17]
	s_mov_b32 s4, 0
.LBB1_171:                              ;   in Loop: Header=BB1_90 Depth=1
	s_andn2_b32 vcc_lo, exec_lo, s4
	s_cbranch_vccnz .LBB1_173
; %bb.172:                              ;   in Loop: Header=BB1_90 Depth=1
	v_mov_b32_e32 v31, v40
	s_add_u32 s8, s36, 0x1000
	s_addc_u32 s9, s37, 0
	s_getpc_b64 s[16:17]
	s_add_u32 s16, s16, _Z50ncclDevFunc_AllReduce_RING_SIMPLE_MinMax_f32_0_0_2v@rel32@lo+4
	s_addc_u32 s17, s17, _Z50ncclDevFunc_AllReduce_RING_SIMPLE_MinMax_f32_0_0_2v@rel32@hi+12
	s_mov_b64 s[4:5], s[48:49]
	s_mov_b64 s[6:7], s[38:39]
	;; [unrolled: 1-line block ×3, first 2 shown]
	s_mov_b32 s12, s51
	s_mov_b32 s13, s50
	;; [unrolled: 1-line block ×3, first 2 shown]
	s_swappc_b64 s[30:31], s[16:17]
.LBB1_173:                              ;   in Loop: Header=BB1_90 Depth=1
	s_mov_b32 s4, 0
.LBB1_174:                              ;   in Loop: Header=BB1_90 Depth=1
	s_andn2_b32 vcc_lo, exec_lo, s4
	s_cbranch_vccnz .LBB1_179
; %bb.175:                              ;   in Loop: Header=BB1_90 Depth=1
	s_cmpk_gt_u32 s65, 0x87
	s_mov_b32 s4, -1
	s_cbranch_scc0 .LBB1_177
; %bb.176:                              ;   in Loop: Header=BB1_90 Depth=1
	v_mov_b32_e32 v31, v40
	s_add_u32 s8, s36, 0x1000
	s_addc_u32 s9, s37, 0
	s_getpc_b64 s[16:17]
	s_add_u32 s16, s16, _Z50ncclDevFunc_AllReduce_RING_SIMPLE_MinMax_f16_0_0_2v@rel32@lo+4
	s_addc_u32 s17, s17, _Z50ncclDevFunc_AllReduce_RING_SIMPLE_MinMax_f16_0_0_2v@rel32@hi+12
	s_mov_b64 s[4:5], s[48:49]
	s_mov_b64 s[6:7], s[38:39]
	;; [unrolled: 1-line block ×3, first 2 shown]
	s_mov_b32 s12, s51
	s_mov_b32 s13, s50
	;; [unrolled: 1-line block ×3, first 2 shown]
	s_swappc_b64 s[30:31], s[16:17]
	s_mov_b32 s4, 0
.LBB1_177:                              ;   in Loop: Header=BB1_90 Depth=1
	s_andn2_b32 vcc_lo, exec_lo, s4
	s_cbranch_vccnz .LBB1_179
; %bb.178:                              ;   in Loop: Header=BB1_90 Depth=1
	v_mov_b32_e32 v31, v40
	s_add_u32 s8, s36, 0x1000
	s_addc_u32 s9, s37, 0
	s_getpc_b64 s[16:17]
	s_add_u32 s16, s16, _Z50ncclDevFunc_AllReduce_RING_SIMPLE_MinMax_u64_0_0_2v@rel32@lo+4
	s_addc_u32 s17, s17, _Z50ncclDevFunc_AllReduce_RING_SIMPLE_MinMax_u64_0_0_2v@rel32@hi+12
	s_mov_b64 s[4:5], s[48:49]
	s_mov_b64 s[6:7], s[38:39]
	;; [unrolled: 1-line block ×3, first 2 shown]
	s_mov_b32 s12, s51
	s_mov_b32 s13, s50
	;; [unrolled: 1-line block ×3, first 2 shown]
	s_swappc_b64 s[30:31], s[16:17]
.LBB1_179:                              ;   in Loop: Header=BB1_90 Depth=1
	s_mov_b32 s4, 0
.LBB1_180:                              ;   in Loop: Header=BB1_90 Depth=1
	s_andn2_b32 vcc_lo, exec_lo, s4
	s_cbranch_vccnz .LBB1_264
; %bb.181:                              ;   in Loop: Header=BB1_90 Depth=1
	s_cmpk_gt_u32 s65, 0x6e
	s_mov_b32 s4, -1
	s_cbranch_scc0 .LBB1_223
; %bb.182:                              ;   in Loop: Header=BB1_90 Depth=1
	s_cmpk_gt_u32 s65, 0x79
	s_cbranch_scc0 .LBB1_202
; %bb.183:                              ;   in Loop: Header=BB1_90 Depth=1
	s_cmpk_gt_u32 s65, 0x7f
	;; [unrolled: 3-line block ×3, first 2 shown]
	s_cbranch_scc0 .LBB1_190
; %bb.185:                              ;   in Loop: Header=BB1_90 Depth=1
	s_cmpk_lg_i32 s65, 0x83
	s_cbranch_scc0 .LBB1_187
; %bb.186:                              ;   in Loop: Header=BB1_90 Depth=1
	v_mov_b32_e32 v31, v40
	s_add_u32 s8, s36, 0x1000
	s_addc_u32 s9, s37, 0
	s_getpc_b64 s[16:17]
	s_add_u32 s16, s16, _Z50ncclDevFunc_AllReduce_RING_SIMPLE_MinMax_u32_0_0_2v@rel32@lo+4
	s_addc_u32 s17, s17, _Z50ncclDevFunc_AllReduce_RING_SIMPLE_MinMax_u32_0_0_2v@rel32@hi+12
	s_mov_b64 s[4:5], s[48:49]
	s_mov_b64 s[6:7], s[38:39]
	;; [unrolled: 1-line block ×3, first 2 shown]
	s_mov_b32 s12, s51
	s_mov_b32 s13, s50
	;; [unrolled: 1-line block ×3, first 2 shown]
	s_swappc_b64 s[30:31], s[16:17]
	s_mov_b32 s4, 0
.LBB1_187:                              ;   in Loop: Header=BB1_90 Depth=1
	s_andn2_b32 vcc_lo, exec_lo, s4
	s_cbranch_vccnz .LBB1_189
; %bb.188:                              ;   in Loop: Header=BB1_90 Depth=1
	v_mov_b32_e32 v31, v40
	s_add_u32 s8, s36, 0x1000
	s_addc_u32 s9, s37, 0
	s_getpc_b64 s[16:17]
	s_add_u32 s16, s16, _Z49ncclDevFunc_AllReduce_RING_SIMPLE_MinMax_u8_0_0_2v@rel32@lo+4
	s_addc_u32 s17, s17, _Z49ncclDevFunc_AllReduce_RING_SIMPLE_MinMax_u8_0_0_2v@rel32@hi+12
	s_mov_b64 s[4:5], s[48:49]
	s_mov_b64 s[6:7], s[38:39]
	;; [unrolled: 1-line block ×3, first 2 shown]
	s_mov_b32 s12, s51
	s_mov_b32 s13, s50
	;; [unrolled: 1-line block ×3, first 2 shown]
	s_swappc_b64 s[30:31], s[16:17]
.LBB1_189:                              ;   in Loop: Header=BB1_90 Depth=1
	s_mov_b32 s4, 0
.LBB1_190:                              ;   in Loop: Header=BB1_90 Depth=1
	s_andn2_b32 vcc_lo, exec_lo, s4
	s_cbranch_vccnz .LBB1_192
; %bb.191:                              ;   in Loop: Header=BB1_90 Depth=1
	v_mov_b32_e32 v31, v40
	s_add_u32 s8, s36, 0x1000
	s_addc_u32 s9, s37, 0
	s_getpc_b64 s[16:17]
	s_add_u32 s16, s16, _Z51ncclDevFunc_AllReduce_RING_SIMPLE_Prod_f8e5m2_0_0_2v@rel32@lo+4
	s_addc_u32 s17, s17, _Z51ncclDevFunc_AllReduce_RING_SIMPLE_Prod_f8e5m2_0_0_2v@rel32@hi+12
	s_mov_b64 s[4:5], s[48:49]
	s_mov_b64 s[6:7], s[38:39]
	;; [unrolled: 1-line block ×3, first 2 shown]
	s_mov_b32 s12, s51
	s_mov_b32 s13, s50
	;; [unrolled: 1-line block ×3, first 2 shown]
	s_swappc_b64 s[30:31], s[16:17]
.LBB1_192:                              ;   in Loop: Header=BB1_90 Depth=1
	s_mov_b32 s4, 0
.LBB1_193:                              ;   in Loop: Header=BB1_90 Depth=1
	s_andn2_b32 vcc_lo, exec_lo, s4
	s_cbranch_vccnz .LBB1_201
; %bb.194:                              ;   in Loop: Header=BB1_90 Depth=1
	s_cmpk_gt_u32 s65, 0x7c
	s_mov_b32 s4, -1
	s_cbranch_scc0 .LBB1_196
; %bb.195:                              ;   in Loop: Header=BB1_90 Depth=1
	v_mov_b32_e32 v31, v40
	s_add_u32 s8, s36, 0x1000
	s_addc_u32 s9, s37, 0
	s_getpc_b64 s[16:17]
	s_add_u32 s16, s16, _Z51ncclDevFunc_AllReduce_RING_SIMPLE_Prod_f8e4m3_0_0_2v@rel32@lo+4
	s_addc_u32 s17, s17, _Z51ncclDevFunc_AllReduce_RING_SIMPLE_Prod_f8e4m3_0_0_2v@rel32@hi+12
	s_mov_b64 s[4:5], s[48:49]
	s_mov_b64 s[6:7], s[38:39]
	;; [unrolled: 1-line block ×3, first 2 shown]
	s_mov_b32 s12, s51
	s_mov_b32 s13, s50
	;; [unrolled: 1-line block ×3, first 2 shown]
	s_swappc_b64 s[30:31], s[16:17]
	s_mov_b32 s4, 0
.LBB1_196:                              ;   in Loop: Header=BB1_90 Depth=1
	s_andn2_b32 vcc_lo, exec_lo, s4
	s_cbranch_vccnz .LBB1_201
; %bb.197:                              ;   in Loop: Header=BB1_90 Depth=1
	s_cmpk_eq_i32 s65, 0x7c
	s_mov_b32 s4, -1
	s_cbranch_scc1 .LBB1_199
; %bb.198:                              ;   in Loop: Header=BB1_90 Depth=1
	v_mov_b32_e32 v31, v40
	s_add_u32 s8, s36, 0x1000
	s_addc_u32 s9, s37, 0
	s_getpc_b64 s[16:17]
	s_add_u32 s16, s16, _Z49ncclDevFunc_AllReduce_RING_SIMPLE_Prod_bf16_0_0_2v@rel32@lo+4
	s_addc_u32 s17, s17, _Z49ncclDevFunc_AllReduce_RING_SIMPLE_Prod_bf16_0_0_2v@rel32@hi+12
	s_mov_b64 s[4:5], s[48:49]
	s_mov_b64 s[6:7], s[38:39]
	;; [unrolled: 1-line block ×3, first 2 shown]
	s_mov_b32 s12, s51
	s_mov_b32 s13, s50
	;; [unrolled: 1-line block ×3, first 2 shown]
	s_swappc_b64 s[30:31], s[16:17]
	s_mov_b32 s4, 0
.LBB1_199:                              ;   in Loop: Header=BB1_90 Depth=1
	s_andn2_b32 vcc_lo, exec_lo, s4
	s_cbranch_vccnz .LBB1_201
; %bb.200:                              ;   in Loop: Header=BB1_90 Depth=1
	v_mov_b32_e32 v31, v40
	s_add_u32 s8, s36, 0x1000
	s_addc_u32 s9, s37, 0
	s_getpc_b64 s[16:17]
	s_add_u32 s16, s16, _Z49ncclDevFunc_AllReduce_RING_SIMPLE_Prod_bf16_0_1_2v@rel32@lo+4
	s_addc_u32 s17, s17, _Z49ncclDevFunc_AllReduce_RING_SIMPLE_Prod_bf16_0_1_2v@rel32@hi+12
	s_mov_b64 s[4:5], s[48:49]
	s_mov_b64 s[6:7], s[38:39]
	;; [unrolled: 1-line block ×3, first 2 shown]
	s_mov_b32 s12, s51
	s_mov_b32 s13, s50
	;; [unrolled: 1-line block ×3, first 2 shown]
	s_swappc_b64 s[30:31], s[16:17]
.LBB1_201:                              ;   in Loop: Header=BB1_90 Depth=1
	s_mov_b32 s4, 0
.LBB1_202:                              ;   in Loop: Header=BB1_90 Depth=1
	s_andn2_b32 vcc_lo, exec_lo, s4
	s_cbranch_vccnz .LBB1_222
; %bb.203:                              ;   in Loop: Header=BB1_90 Depth=1
	s_cmpk_gt_u32 s65, 0x73
	s_mov_b32 s4, -1
	s_cbranch_scc0 .LBB1_213
; %bb.204:                              ;   in Loop: Header=BB1_90 Depth=1
	s_cmpk_gt_u32 s65, 0x76
	s_cbranch_scc0 .LBB1_210
; %bb.205:                              ;   in Loop: Header=BB1_90 Depth=1
	s_cmpk_lg_i32 s65, 0x77
	s_cbranch_scc0 .LBB1_207
; %bb.206:                              ;   in Loop: Header=BB1_90 Depth=1
	v_mov_b32_e32 v31, v40
	s_add_u32 s8, s36, 0x1000
	s_addc_u32 s9, s37, 0
	s_getpc_b64 s[16:17]
	s_add_u32 s16, s16, _Z48ncclDevFunc_AllReduce_RING_SIMPLE_Prod_f64_0_0_2v@rel32@lo+4
	s_addc_u32 s17, s17, _Z48ncclDevFunc_AllReduce_RING_SIMPLE_Prod_f64_0_0_2v@rel32@hi+12
	s_mov_b64 s[4:5], s[48:49]
	s_mov_b64 s[6:7], s[38:39]
	;; [unrolled: 1-line block ×3, first 2 shown]
	s_mov_b32 s12, s51
	s_mov_b32 s13, s50
	;; [unrolled: 1-line block ×3, first 2 shown]
	s_swappc_b64 s[30:31], s[16:17]
	s_mov_b32 s4, 0
.LBB1_207:                              ;   in Loop: Header=BB1_90 Depth=1
	s_andn2_b32 vcc_lo, exec_lo, s4
	s_cbranch_vccnz .LBB1_209
; %bb.208:                              ;   in Loop: Header=BB1_90 Depth=1
	v_mov_b32_e32 v31, v40
	s_add_u32 s8, s36, 0x1000
	s_addc_u32 s9, s37, 0
	s_getpc_b64 s[16:17]
	s_add_u32 s16, s16, _Z48ncclDevFunc_AllReduce_RING_SIMPLE_Prod_f32_0_0_2v@rel32@lo+4
	s_addc_u32 s17, s17, _Z48ncclDevFunc_AllReduce_RING_SIMPLE_Prod_f32_0_0_2v@rel32@hi+12
	s_mov_b64 s[4:5], s[48:49]
	s_mov_b64 s[6:7], s[38:39]
	;; [unrolled: 1-line block ×3, first 2 shown]
	s_mov_b32 s12, s51
	s_mov_b32 s13, s50
	;; [unrolled: 1-line block ×3, first 2 shown]
	s_swappc_b64 s[30:31], s[16:17]
.LBB1_209:                              ;   in Loop: Header=BB1_90 Depth=1
	s_mov_b32 s4, 0
.LBB1_210:                              ;   in Loop: Header=BB1_90 Depth=1
	s_andn2_b32 vcc_lo, exec_lo, s4
	s_cbranch_vccnz .LBB1_212
; %bb.211:                              ;   in Loop: Header=BB1_90 Depth=1
	v_mov_b32_e32 v31, v40
	s_add_u32 s8, s36, 0x1000
	s_addc_u32 s9, s37, 0
	s_getpc_b64 s[16:17]
	s_add_u32 s16, s16, _Z48ncclDevFunc_AllReduce_RING_SIMPLE_Prod_f16_0_0_2v@rel32@lo+4
	s_addc_u32 s17, s17, _Z48ncclDevFunc_AllReduce_RING_SIMPLE_Prod_f16_0_0_2v@rel32@hi+12
	s_mov_b64 s[4:5], s[48:49]
	s_mov_b64 s[6:7], s[38:39]
	;; [unrolled: 1-line block ×3, first 2 shown]
	s_mov_b32 s12, s51
	s_mov_b32 s13, s50
	;; [unrolled: 1-line block ×3, first 2 shown]
	s_swappc_b64 s[30:31], s[16:17]
.LBB1_212:                              ;   in Loop: Header=BB1_90 Depth=1
	s_mov_b32 s4, 0
.LBB1_213:                              ;   in Loop: Header=BB1_90 Depth=1
	s_andn2_b32 vcc_lo, exec_lo, s4
	s_cbranch_vccnz .LBB1_222
; %bb.214:                              ;   in Loop: Header=BB1_90 Depth=1
	s_cmpk_gt_u32 s65, 0x70
	s_mov_b32 s4, -1
	s_cbranch_scc0 .LBB1_220
; %bb.215:                              ;   in Loop: Header=BB1_90 Depth=1
	s_cmpk_lg_i32 s65, 0x71
	s_cbranch_scc0 .LBB1_217
; %bb.216:                              ;   in Loop: Header=BB1_90 Depth=1
	v_mov_b32_e32 v31, v40
	s_add_u32 s8, s36, 0x1000
	s_addc_u32 s9, s37, 0
	s_getpc_b64 s[16:17]
	s_add_u32 s16, s16, _Z48ncclDevFunc_AllReduce_RING_SIMPLE_Prod_u64_0_0_2v@rel32@lo+4
	s_addc_u32 s17, s17, _Z48ncclDevFunc_AllReduce_RING_SIMPLE_Prod_u64_0_0_2v@rel32@hi+12
	s_mov_b64 s[4:5], s[48:49]
	s_mov_b64 s[6:7], s[38:39]
	;; [unrolled: 1-line block ×3, first 2 shown]
	s_mov_b32 s12, s51
	s_mov_b32 s13, s50
	;; [unrolled: 1-line block ×3, first 2 shown]
	s_swappc_b64 s[30:31], s[16:17]
	s_mov_b32 s4, 0
.LBB1_217:                              ;   in Loop: Header=BB1_90 Depth=1
	s_andn2_b32 vcc_lo, exec_lo, s4
	s_cbranch_vccnz .LBB1_219
; %bb.218:                              ;   in Loop: Header=BB1_90 Depth=1
	v_mov_b32_e32 v31, v40
	s_add_u32 s8, s36, 0x1000
	s_addc_u32 s9, s37, 0
	s_getpc_b64 s[16:17]
	s_add_u32 s16, s16, _Z48ncclDevFunc_AllReduce_RING_SIMPLE_Prod_u32_0_0_2v@rel32@lo+4
	s_addc_u32 s17, s17, _Z48ncclDevFunc_AllReduce_RING_SIMPLE_Prod_u32_0_0_2v@rel32@hi+12
	s_mov_b64 s[4:5], s[48:49]
	s_mov_b64 s[6:7], s[38:39]
	;; [unrolled: 1-line block ×3, first 2 shown]
	s_mov_b32 s12, s51
	s_mov_b32 s13, s50
	;; [unrolled: 1-line block ×3, first 2 shown]
	s_swappc_b64 s[30:31], s[16:17]
.LBB1_219:                              ;   in Loop: Header=BB1_90 Depth=1
	s_mov_b32 s4, 0
.LBB1_220:                              ;   in Loop: Header=BB1_90 Depth=1
	s_andn2_b32 vcc_lo, exec_lo, s4
	s_cbranch_vccnz .LBB1_222
; %bb.221:                              ;   in Loop: Header=BB1_90 Depth=1
	v_mov_b32_e32 v31, v40
	s_add_u32 s8, s36, 0x1000
	s_addc_u32 s9, s37, 0
	s_getpc_b64 s[16:17]
	s_add_u32 s16, s16, _Z47ncclDevFunc_AllReduce_RING_SIMPLE_Prod_u8_0_0_2v@rel32@lo+4
	s_addc_u32 s17, s17, _Z47ncclDevFunc_AllReduce_RING_SIMPLE_Prod_u8_0_0_2v@rel32@hi+12
	s_mov_b64 s[4:5], s[48:49]
	s_mov_b64 s[6:7], s[38:39]
	;; [unrolled: 1-line block ×3, first 2 shown]
	s_mov_b32 s12, s51
	s_mov_b32 s13, s50
	;; [unrolled: 1-line block ×3, first 2 shown]
	s_swappc_b64 s[30:31], s[16:17]
.LBB1_222:                              ;   in Loop: Header=BB1_90 Depth=1
	s_mov_b32 s4, 0
.LBB1_223:                              ;   in Loop: Header=BB1_90 Depth=1
	s_andn2_b32 vcc_lo, exec_lo, s4
	s_cbranch_vccnz .LBB1_264
; %bb.224:                              ;   in Loop: Header=BB1_90 Depth=1
	s_cmpk_gt_u32 s65, 0x63
	s_mov_b32 s4, -1
	s_cbranch_scc0 .LBB1_241
; %bb.225:                              ;   in Loop: Header=BB1_90 Depth=1
	s_cmpk_gt_u32 s65, 0x68
	s_cbranch_scc0 .LBB1_231
; %bb.226:                              ;   in Loop: Header=BB1_90 Depth=1
	s_cmpk_gt_u32 s65, 0x6b
	s_cbranch_scc0 .LBB1_228
; %bb.227:                              ;   in Loop: Header=BB1_90 Depth=1
	v_mov_b32_e32 v31, v40
	s_add_u32 s8, s36, 0x1000
	s_addc_u32 s9, s37, 0
	s_getpc_b64 s[16:17]
	s_add_u32 s16, s16, _Z50ncclDevFunc_AllReduce_RING_SIMPLE_Sum_f8e5m2_0_0_2v@rel32@lo+4
	s_addc_u32 s17, s17, _Z50ncclDevFunc_AllReduce_RING_SIMPLE_Sum_f8e5m2_0_0_2v@rel32@hi+12
	s_mov_b64 s[4:5], s[48:49]
	s_mov_b64 s[6:7], s[38:39]
	;; [unrolled: 1-line block ×3, first 2 shown]
	s_mov_b32 s12, s51
	s_mov_b32 s13, s50
	;; [unrolled: 1-line block ×3, first 2 shown]
	s_swappc_b64 s[30:31], s[16:17]
	s_mov_b32 s4, 0
.LBB1_228:                              ;   in Loop: Header=BB1_90 Depth=1
	s_andn2_b32 vcc_lo, exec_lo, s4
	s_cbranch_vccnz .LBB1_230
; %bb.229:                              ;   in Loop: Header=BB1_90 Depth=1
	v_mov_b32_e32 v31, v40
	s_add_u32 s8, s36, 0x1000
	s_addc_u32 s9, s37, 0
	s_getpc_b64 s[16:17]
	s_add_u32 s16, s16, _Z50ncclDevFunc_AllReduce_RING_SIMPLE_Sum_f8e4m3_0_0_2v@rel32@lo+4
	s_addc_u32 s17, s17, _Z50ncclDevFunc_AllReduce_RING_SIMPLE_Sum_f8e4m3_0_0_2v@rel32@hi+12
	s_mov_b64 s[4:5], s[48:49]
	s_mov_b64 s[6:7], s[38:39]
	;; [unrolled: 1-line block ×3, first 2 shown]
	s_mov_b32 s12, s51
	s_mov_b32 s13, s50
	;; [unrolled: 1-line block ×3, first 2 shown]
	s_swappc_b64 s[30:31], s[16:17]
.LBB1_230:                              ;   in Loop: Header=BB1_90 Depth=1
	s_mov_b32 s4, 0
.LBB1_231:                              ;   in Loop: Header=BB1_90 Depth=1
	s_andn2_b32 vcc_lo, exec_lo, s4
	s_cbranch_vccnz .LBB1_240
; %bb.232:                              ;   in Loop: Header=BB1_90 Depth=1
	s_cmpk_gt_u32 s65, 0x65
	s_mov_b32 s4, -1
	s_cbranch_scc0 .LBB1_238
; %bb.233:                              ;   in Loop: Header=BB1_90 Depth=1
	s_cmpk_eq_i32 s65, 0x68
	s_cbranch_scc1 .LBB1_235
; %bb.234:                              ;   in Loop: Header=BB1_90 Depth=1
	v_mov_b32_e32 v31, v40
	s_add_u32 s8, s36, 0x1000
	s_addc_u32 s9, s37, 0
	s_getpc_b64 s[16:17]
	s_add_u32 s16, s16, _Z48ncclDevFunc_AllReduce_RING_SIMPLE_Sum_bf16_0_0_2v@rel32@lo+4
	s_addc_u32 s17, s17, _Z48ncclDevFunc_AllReduce_RING_SIMPLE_Sum_bf16_0_0_2v@rel32@hi+12
	s_mov_b64 s[4:5], s[48:49]
	s_mov_b64 s[6:7], s[38:39]
	;; [unrolled: 1-line block ×3, first 2 shown]
	s_mov_b32 s12, s51
	s_mov_b32 s13, s50
	;; [unrolled: 1-line block ×3, first 2 shown]
	s_swappc_b64 s[30:31], s[16:17]
	s_mov_b32 s4, 0
.LBB1_235:                              ;   in Loop: Header=BB1_90 Depth=1
	s_andn2_b32 vcc_lo, exec_lo, s4
	s_cbranch_vccnz .LBB1_237
; %bb.236:                              ;   in Loop: Header=BB1_90 Depth=1
	v_mov_b32_e32 v31, v40
	s_add_u32 s8, s36, 0x1000
	s_addc_u32 s9, s37, 0
	s_getpc_b64 s[16:17]
	s_add_u32 s16, s16, _Z48ncclDevFunc_AllReduce_RING_SIMPLE_Sum_bf16_0_1_2v@rel32@lo+4
	s_addc_u32 s17, s17, _Z48ncclDevFunc_AllReduce_RING_SIMPLE_Sum_bf16_0_1_2v@rel32@hi+12
	s_mov_b64 s[4:5], s[48:49]
	s_mov_b64 s[6:7], s[38:39]
	;; [unrolled: 1-line block ×3, first 2 shown]
	s_mov_b32 s12, s51
	s_mov_b32 s13, s50
	;; [unrolled: 1-line block ×3, first 2 shown]
	s_swappc_b64 s[30:31], s[16:17]
.LBB1_237:                              ;   in Loop: Header=BB1_90 Depth=1
	s_mov_b32 s4, 0
.LBB1_238:                              ;   in Loop: Header=BB1_90 Depth=1
	s_andn2_b32 vcc_lo, exec_lo, s4
	s_cbranch_vccnz .LBB1_240
; %bb.239:                              ;   in Loop: Header=BB1_90 Depth=1
	v_mov_b32_e32 v31, v40
	s_add_u32 s8, s36, 0x1000
	s_addc_u32 s9, s37, 0
	s_getpc_b64 s[16:17]
	s_add_u32 s16, s16, _Z47ncclDevFunc_AllReduce_RING_SIMPLE_Sum_f64_0_0_2v@rel32@lo+4
	s_addc_u32 s17, s17, _Z47ncclDevFunc_AllReduce_RING_SIMPLE_Sum_f64_0_0_2v@rel32@hi+12
	s_mov_b64 s[4:5], s[48:49]
	s_mov_b64 s[6:7], s[38:39]
	s_mov_b64 s[10:11], s[34:35]
	s_mov_b32 s12, s51
	s_mov_b32 s13, s50
	s_mov_b32 s14, s33
	s_swappc_b64 s[30:31], s[16:17]
.LBB1_240:                              ;   in Loop: Header=BB1_90 Depth=1
	s_mov_b32 s4, 0
.LBB1_241:                              ;   in Loop: Header=BB1_90 Depth=1
	s_andn2_b32 vcc_lo, exec_lo, s4
	s_cbranch_vccnz .LBB1_264
; %bb.242:                              ;   in Loop: Header=BB1_90 Depth=1
	s_cmpk_gt_u32 s65, 0x5d
	s_mov_b32 s4, -1
	s_cbranch_scc0 .LBB1_252
; %bb.243:                              ;   in Loop: Header=BB1_90 Depth=1
	s_cmpk_gt_u32 s65, 0x60
	s_cbranch_scc0 .LBB1_249
; %bb.244:                              ;   in Loop: Header=BB1_90 Depth=1
	s_cmpk_lg_i32 s65, 0x61
	s_cbranch_scc0 .LBB1_246
; %bb.245:                              ;   in Loop: Header=BB1_90 Depth=1
	v_mov_b32_e32 v31, v40
	s_add_u32 s8, s36, 0x1000
	s_addc_u32 s9, s37, 0
	s_getpc_b64 s[16:17]
	s_add_u32 s16, s16, _Z47ncclDevFunc_AllReduce_RING_SIMPLE_Sum_f32_0_0_2v@rel32@lo+4
	s_addc_u32 s17, s17, _Z47ncclDevFunc_AllReduce_RING_SIMPLE_Sum_f32_0_0_2v@rel32@hi+12
	s_mov_b64 s[4:5], s[48:49]
	s_mov_b64 s[6:7], s[38:39]
	;; [unrolled: 1-line block ×3, first 2 shown]
	s_mov_b32 s12, s51
	s_mov_b32 s13, s50
	s_mov_b32 s14, s33
	s_swappc_b64 s[30:31], s[16:17]
	s_mov_b32 s4, 0
.LBB1_246:                              ;   in Loop: Header=BB1_90 Depth=1
	s_andn2_b32 vcc_lo, exec_lo, s4
	s_cbranch_vccnz .LBB1_248
; %bb.247:                              ;   in Loop: Header=BB1_90 Depth=1
	v_mov_b32_e32 v31, v40
	s_add_u32 s8, s36, 0x1000
	s_addc_u32 s9, s37, 0
	s_getpc_b64 s[16:17]
	s_add_u32 s16, s16, _Z47ncclDevFunc_AllReduce_RING_SIMPLE_Sum_f16_0_0_2v@rel32@lo+4
	s_addc_u32 s17, s17, _Z47ncclDevFunc_AllReduce_RING_SIMPLE_Sum_f16_0_0_2v@rel32@hi+12
	s_mov_b64 s[4:5], s[48:49]
	s_mov_b64 s[6:7], s[38:39]
	;; [unrolled: 1-line block ×3, first 2 shown]
	s_mov_b32 s12, s51
	s_mov_b32 s13, s50
	;; [unrolled: 1-line block ×3, first 2 shown]
	s_swappc_b64 s[30:31], s[16:17]
.LBB1_248:                              ;   in Loop: Header=BB1_90 Depth=1
	s_mov_b32 s4, 0
.LBB1_249:                              ;   in Loop: Header=BB1_90 Depth=1
	s_andn2_b32 vcc_lo, exec_lo, s4
	s_cbranch_vccnz .LBB1_251
; %bb.250:                              ;   in Loop: Header=BB1_90 Depth=1
	v_mov_b32_e32 v31, v40
	s_add_u32 s8, s36, 0x1000
	s_addc_u32 s9, s37, 0
	s_getpc_b64 s[16:17]
	s_add_u32 s16, s16, _Z47ncclDevFunc_AllReduce_RING_SIMPLE_Sum_u64_0_0_2v@rel32@lo+4
	s_addc_u32 s17, s17, _Z47ncclDevFunc_AllReduce_RING_SIMPLE_Sum_u64_0_0_2v@rel32@hi+12
	s_mov_b64 s[4:5], s[48:49]
	s_mov_b64 s[6:7], s[38:39]
	;; [unrolled: 1-line block ×3, first 2 shown]
	s_mov_b32 s12, s51
	s_mov_b32 s13, s50
	;; [unrolled: 1-line block ×3, first 2 shown]
	s_swappc_b64 s[30:31], s[16:17]
.LBB1_251:                              ;   in Loop: Header=BB1_90 Depth=1
	s_mov_b32 s4, 0
.LBB1_252:                              ;   in Loop: Header=BB1_90 Depth=1
	s_andn2_b32 vcc_lo, exec_lo, s4
	s_cbranch_vccnz .LBB1_264
; %bb.253:                              ;   in Loop: Header=BB1_90 Depth=1
	s_cmpk_gt_u32 s65, 0x5a
	s_mov_b32 s4, -1
	s_cbranch_scc0 .LBB1_259
; %bb.254:                              ;   in Loop: Header=BB1_90 Depth=1
	s_cmpk_lg_i32 s65, 0x5b
	s_cbranch_scc0 .LBB1_256
; %bb.255:                              ;   in Loop: Header=BB1_90 Depth=1
	v_mov_b32_e32 v31, v40
	s_add_u32 s8, s36, 0x1000
	s_addc_u32 s9, s37, 0
	s_getpc_b64 s[16:17]
	s_add_u32 s16, s16, _Z47ncclDevFunc_AllReduce_RING_SIMPLE_Sum_u32_0_0_2v@rel32@lo+4
	s_addc_u32 s17, s17, _Z47ncclDevFunc_AllReduce_RING_SIMPLE_Sum_u32_0_0_2v@rel32@hi+12
	s_mov_b64 s[4:5], s[48:49]
	s_mov_b64 s[6:7], s[38:39]
	;; [unrolled: 1-line block ×3, first 2 shown]
	s_mov_b32 s12, s51
	s_mov_b32 s13, s50
	;; [unrolled: 1-line block ×3, first 2 shown]
	s_swappc_b64 s[30:31], s[16:17]
	s_mov_b32 s4, 0
.LBB1_256:                              ;   in Loop: Header=BB1_90 Depth=1
	s_andn2_b32 vcc_lo, exec_lo, s4
	s_cbranch_vccnz .LBB1_258
; %bb.257:                              ;   in Loop: Header=BB1_90 Depth=1
	v_mov_b32_e32 v31, v40
	s_add_u32 s8, s36, 0x1000
	s_addc_u32 s9, s37, 0
	s_getpc_b64 s[16:17]
	s_add_u32 s16, s16, _Z46ncclDevFunc_AllReduce_RING_SIMPLE_Sum_u8_0_0_2v@rel32@lo+4
	s_addc_u32 s17, s17, _Z46ncclDevFunc_AllReduce_RING_SIMPLE_Sum_u8_0_0_2v@rel32@hi+12
	s_mov_b64 s[4:5], s[48:49]
	s_mov_b64 s[6:7], s[38:39]
	;; [unrolled: 1-line block ×3, first 2 shown]
	s_mov_b32 s12, s51
	s_mov_b32 s13, s50
	;; [unrolled: 1-line block ×3, first 2 shown]
	s_swappc_b64 s[30:31], s[16:17]
.LBB1_258:                              ;   in Loop: Header=BB1_90 Depth=1
	s_mov_b32 s4, 0
.LBB1_259:                              ;   in Loop: Header=BB1_90 Depth=1
	s_andn2_b32 vcc_lo, exec_lo, s4
	s_cbranch_vccnz .LBB1_264
; %bb.260:                              ;   in Loop: Header=BB1_90 Depth=1
	s_cmpk_eq_i32 s65, 0x5a
	s_mov_b32 s4, -1
	s_cbranch_scc1 .LBB1_262
; %bb.261:                              ;   in Loop: Header=BB1_90 Depth=1
	v_mov_b32_e32 v31, v40
	s_add_u32 s8, s36, 0x1000
	s_addc_u32 s9, s37, 0
	s_getpc_b64 s[16:17]
	s_add_u32 s16, s16, _Z54ncclDevFunc_ReduceScatter_RING_LL_SumPostDiv_u32_0_0_2v@rel32@lo+4
	s_addc_u32 s17, s17, _Z54ncclDevFunc_ReduceScatter_RING_LL_SumPostDiv_u32_0_0_2v@rel32@hi+12
	s_mov_b64 s[4:5], s[48:49]
	s_mov_b64 s[6:7], s[38:39]
	;; [unrolled: 1-line block ×3, first 2 shown]
	s_mov_b32 s12, s51
	s_mov_b32 s13, s50
	;; [unrolled: 1-line block ×3, first 2 shown]
	s_swappc_b64 s[30:31], s[16:17]
	s_mov_b32 s4, 0
.LBB1_262:                              ;   in Loop: Header=BB1_90 Depth=1
	s_andn2_b32 vcc_lo, exec_lo, s4
	s_cbranch_vccnz .LBB1_264
; %bb.263:                              ;   in Loop: Header=BB1_90 Depth=1
	v_mov_b32_e32 v31, v40
	s_add_u32 s8, s36, 0x1000
	s_addc_u32 s9, s37, 0
	s_getpc_b64 s[16:17]
	s_add_u32 s16, s16, _Z54ncclDevFunc_ReduceScatter_RING_LL_SumPostDiv_u64_0_0_2v@rel32@lo+4
	s_addc_u32 s17, s17, _Z54ncclDevFunc_ReduceScatter_RING_LL_SumPostDiv_u64_0_0_2v@rel32@hi+12
	s_mov_b64 s[4:5], s[48:49]
	s_mov_b64 s[6:7], s[38:39]
	;; [unrolled: 1-line block ×3, first 2 shown]
	s_mov_b32 s12, s51
	s_mov_b32 s13, s50
	;; [unrolled: 1-line block ×3, first 2 shown]
	s_swappc_b64 s[30:31], s[16:17]
.LBB1_264:                              ;   in Loop: Header=BB1_90 Depth=1
	s_mov_b32 s4, 0
.LBB1_265:                              ;   in Loop: Header=BB1_90 Depth=1
	s_andn2_b32 vcc_lo, exec_lo, s4
	s_cbranch_vccnz .LBB1_576
; %bb.266:                              ;   in Loop: Header=BB1_90 Depth=1
	s_and_b32 s65, 0xffff, s64
	s_mov_b32 s4, -1
	s_cmp_gt_u32 s65, 43
	s_cbranch_scc0 .LBB1_421
; %bb.267:                              ;   in Loop: Header=BB1_90 Depth=1
	s_cmpk_gt_u32 s65, 0x41
	s_cbranch_scc0 .LBB1_350
; %bb.268:                              ;   in Loop: Header=BB1_90 Depth=1
	s_cmpk_gt_u32 s65, 0x4c
	;; [unrolled: 3-line block ×4, first 2 shown]
	s_cbranch_scc0 .LBB1_280
; %bb.271:                              ;   in Loop: Header=BB1_90 Depth=1
	s_sext_i32_i16 s4, s64
	s_cmpk_lt_i32 s4, 0x57
	s_mov_b32 s4, -1
	s_cbranch_scc1 .LBB1_277
; %bb.272:                              ;   in Loop: Header=BB1_90 Depth=1
	s_cmpk_lg_i32 s65, 0x57
	s_cbranch_scc0 .LBB1_274
; %bb.273:                              ;   in Loop: Header=BB1_90 Depth=1
	v_mov_b32_e32 v31, v40
	s_add_u32 s8, s36, 0x1000
	s_addc_u32 s9, s37, 0
	s_getpc_b64 s[16:17]
	s_add_u32 s16, s16, _Z53ncclDevFunc_ReduceScatter_RING_LL_SumPostDiv_u8_0_0_2v@rel32@lo+4
	s_addc_u32 s17, s17, _Z53ncclDevFunc_ReduceScatter_RING_LL_SumPostDiv_u8_0_0_2v@rel32@hi+12
	s_mov_b64 s[4:5], s[48:49]
	s_mov_b64 s[6:7], s[38:39]
	;; [unrolled: 1-line block ×3, first 2 shown]
	s_mov_b32 s12, s51
	s_mov_b32 s13, s50
	;; [unrolled: 1-line block ×3, first 2 shown]
	s_swappc_b64 s[30:31], s[16:17]
	s_mov_b32 s4, 0
.LBB1_274:                              ;   in Loop: Header=BB1_90 Depth=1
	s_andn2_b32 vcc_lo, exec_lo, s4
	s_cbranch_vccnz .LBB1_276
; %bb.275:                              ;   in Loop: Header=BB1_90 Depth=1
	v_mov_b32_e32 v31, v40
	s_add_u32 s8, s36, 0x1000
	s_addc_u32 s9, s37, 0
	s_getpc_b64 s[16:17]
	s_add_u32 s16, s16, _Z56ncclDevFunc_ReduceScatter_RING_LL_PreMulSum_f8e5m2_0_0_2v@rel32@lo+4
	s_addc_u32 s17, s17, _Z56ncclDevFunc_ReduceScatter_RING_LL_PreMulSum_f8e5m2_0_0_2v@rel32@hi+12
	s_mov_b64 s[4:5], s[48:49]
	s_mov_b64 s[6:7], s[38:39]
	;; [unrolled: 1-line block ×3, first 2 shown]
	s_mov_b32 s12, s51
	s_mov_b32 s13, s50
	s_mov_b32 s14, s33
	s_swappc_b64 s[30:31], s[16:17]
.LBB1_276:                              ;   in Loop: Header=BB1_90 Depth=1
	s_mov_b32 s4, 0
.LBB1_277:                              ;   in Loop: Header=BB1_90 Depth=1
	s_andn2_b32 vcc_lo, exec_lo, s4
	s_cbranch_vccnz .LBB1_279
; %bb.278:                              ;   in Loop: Header=BB1_90 Depth=1
	v_mov_b32_e32 v31, v40
	s_add_u32 s8, s36, 0x1000
	s_addc_u32 s9, s37, 0
	s_getpc_b64 s[16:17]
	s_add_u32 s16, s16, _Z56ncclDevFunc_ReduceScatter_RING_LL_PreMulSum_f8e4m3_0_0_2v@rel32@lo+4
	s_addc_u32 s17, s17, _Z56ncclDevFunc_ReduceScatter_RING_LL_PreMulSum_f8e4m3_0_0_2v@rel32@hi+12
	s_mov_b64 s[4:5], s[48:49]
	s_mov_b64 s[6:7], s[38:39]
	;; [unrolled: 1-line block ×3, first 2 shown]
	s_mov_b32 s12, s51
	s_mov_b32 s13, s50
	;; [unrolled: 1-line block ×3, first 2 shown]
	s_swappc_b64 s[30:31], s[16:17]
.LBB1_279:                              ;   in Loop: Header=BB1_90 Depth=1
	s_mov_b32 s4, 0
.LBB1_280:                              ;   in Loop: Header=BB1_90 Depth=1
	s_and_b32 vcc_lo, exec_lo, s4
	s_cbranch_vccz .LBB1_289
; %bb.281:                              ;   in Loop: Header=BB1_90 Depth=1
	s_sext_i32_i16 s4, s64
	s_cmpk_lt_i32 s4, 0x54
	s_mov_b32 s4, -1
	s_cbranch_scc1 .LBB1_287
; %bb.282:                              ;   in Loop: Header=BB1_90 Depth=1
	s_cmpk_lg_i32 s65, 0x54
	s_cbranch_scc0 .LBB1_284
; %bb.283:                              ;   in Loop: Header=BB1_90 Depth=1
	v_mov_b32_e32 v31, v40
	s_add_u32 s8, s36, 0x1000
	s_addc_u32 s9, s37, 0
	s_getpc_b64 s[16:17]
	s_add_u32 s16, s16, _Z54ncclDevFunc_ReduceScatter_RING_LL_PreMulSum_bf16_0_0_2v@rel32@lo+4
	s_addc_u32 s17, s17, _Z54ncclDevFunc_ReduceScatter_RING_LL_PreMulSum_bf16_0_0_2v@rel32@hi+12
	s_mov_b64 s[4:5], s[48:49]
	s_mov_b64 s[6:7], s[38:39]
	;; [unrolled: 1-line block ×3, first 2 shown]
	s_mov_b32 s12, s51
	s_mov_b32 s13, s50
	;; [unrolled: 1-line block ×3, first 2 shown]
	s_swappc_b64 s[30:31], s[16:17]
	s_mov_b32 s4, 0
.LBB1_284:                              ;   in Loop: Header=BB1_90 Depth=1
	s_andn2_b32 vcc_lo, exec_lo, s4
	s_cbranch_vccnz .LBB1_286
; %bb.285:                              ;   in Loop: Header=BB1_90 Depth=1
	v_mov_b32_e32 v31, v40
	s_add_u32 s8, s36, 0x1000
	s_addc_u32 s9, s37, 0
	s_getpc_b64 s[16:17]
	s_add_u32 s16, s16, _Z53ncclDevFunc_ReduceScatter_RING_LL_PreMulSum_f64_0_0_2v@rel32@lo+4
	s_addc_u32 s17, s17, _Z53ncclDevFunc_ReduceScatter_RING_LL_PreMulSum_f64_0_0_2v@rel32@hi+12
	s_mov_b64 s[4:5], s[48:49]
	s_mov_b64 s[6:7], s[38:39]
	;; [unrolled: 1-line block ×3, first 2 shown]
	s_mov_b32 s12, s51
	s_mov_b32 s13, s50
	;; [unrolled: 1-line block ×3, first 2 shown]
	s_swappc_b64 s[30:31], s[16:17]
.LBB1_286:                              ;   in Loop: Header=BB1_90 Depth=1
	s_mov_b32 s4, 0
.LBB1_287:                              ;   in Loop: Header=BB1_90 Depth=1
	s_andn2_b32 vcc_lo, exec_lo, s4
	s_cbranch_vccnz .LBB1_289
; %bb.288:                              ;   in Loop: Header=BB1_90 Depth=1
	v_mov_b32_e32 v31, v40
	s_add_u32 s8, s36, 0x1000
	s_addc_u32 s9, s37, 0
	s_getpc_b64 s[16:17]
	s_add_u32 s16, s16, _Z53ncclDevFunc_ReduceScatter_RING_LL_PreMulSum_f32_0_0_2v@rel32@lo+4
	s_addc_u32 s17, s17, _Z53ncclDevFunc_ReduceScatter_RING_LL_PreMulSum_f32_0_0_2v@rel32@hi+12
	s_mov_b64 s[4:5], s[48:49]
	s_mov_b64 s[6:7], s[38:39]
	;; [unrolled: 1-line block ×3, first 2 shown]
	s_mov_b32 s12, s51
	s_mov_b32 s13, s50
	;; [unrolled: 1-line block ×3, first 2 shown]
	s_swappc_b64 s[30:31], s[16:17]
.LBB1_289:                              ;   in Loop: Header=BB1_90 Depth=1
	s_mov_b32 s4, 0
.LBB1_290:                              ;   in Loop: Header=BB1_90 Depth=1
	s_andn2_b32 vcc_lo, exec_lo, s4
	s_cbranch_vccnz .LBB1_310
; %bb.291:                              ;   in Loop: Header=BB1_90 Depth=1
	s_cmpk_gt_u32 s65, 0x4f
	s_mov_b32 s4, -1
	s_cbranch_scc0 .LBB1_301
; %bb.292:                              ;   in Loop: Header=BB1_90 Depth=1
	s_sext_i32_i16 s4, s64
	s_cmpk_lt_i32 s4, 0x51
	s_mov_b32 s4, -1
	s_cbranch_scc1 .LBB1_298
; %bb.293:                              ;   in Loop: Header=BB1_90 Depth=1
	s_cmpk_lg_i32 s65, 0x51
	s_cbranch_scc0 .LBB1_295
; %bb.294:                              ;   in Loop: Header=BB1_90 Depth=1
	v_mov_b32_e32 v31, v40
	s_add_u32 s8, s36, 0x1000
	s_addc_u32 s9, s37, 0
	s_getpc_b64 s[16:17]
	s_add_u32 s16, s16, _Z53ncclDevFunc_ReduceScatter_RING_LL_PreMulSum_f16_0_0_2v@rel32@lo+4
	s_addc_u32 s17, s17, _Z53ncclDevFunc_ReduceScatter_RING_LL_PreMulSum_f16_0_0_2v@rel32@hi+12
	s_mov_b64 s[4:5], s[48:49]
	s_mov_b64 s[6:7], s[38:39]
	;; [unrolled: 1-line block ×3, first 2 shown]
	s_mov_b32 s12, s51
	s_mov_b32 s13, s50
	s_mov_b32 s14, s33
	s_swappc_b64 s[30:31], s[16:17]
	s_mov_b32 s4, 0
.LBB1_295:                              ;   in Loop: Header=BB1_90 Depth=1
	s_andn2_b32 vcc_lo, exec_lo, s4
	s_cbranch_vccnz .LBB1_297
; %bb.296:                              ;   in Loop: Header=BB1_90 Depth=1
	v_mov_b32_e32 v31, v40
	s_add_u32 s8, s36, 0x1000
	s_addc_u32 s9, s37, 0
	s_getpc_b64 s[16:17]
	s_add_u32 s16, s16, _Z53ncclDevFunc_ReduceScatter_RING_LL_PreMulSum_u64_0_0_2v@rel32@lo+4
	s_addc_u32 s17, s17, _Z53ncclDevFunc_ReduceScatter_RING_LL_PreMulSum_u64_0_0_2v@rel32@hi+12
	s_mov_b64 s[4:5], s[48:49]
	s_mov_b64 s[6:7], s[38:39]
	;; [unrolled: 1-line block ×3, first 2 shown]
	s_mov_b32 s12, s51
	s_mov_b32 s13, s50
	;; [unrolled: 1-line block ×3, first 2 shown]
	s_swappc_b64 s[30:31], s[16:17]
.LBB1_297:                              ;   in Loop: Header=BB1_90 Depth=1
	s_mov_b32 s4, 0
.LBB1_298:                              ;   in Loop: Header=BB1_90 Depth=1
	s_andn2_b32 vcc_lo, exec_lo, s4
	s_cbranch_vccnz .LBB1_300
; %bb.299:                              ;   in Loop: Header=BB1_90 Depth=1
	v_mov_b32_e32 v31, v40
	s_add_u32 s8, s36, 0x1000
	s_addc_u32 s9, s37, 0
	s_getpc_b64 s[16:17]
	s_add_u32 s16, s16, _Z53ncclDevFunc_ReduceScatter_RING_LL_PreMulSum_u32_0_0_2v@rel32@lo+4
	s_addc_u32 s17, s17, _Z53ncclDevFunc_ReduceScatter_RING_LL_PreMulSum_u32_0_0_2v@rel32@hi+12
	s_mov_b64 s[4:5], s[48:49]
	s_mov_b64 s[6:7], s[38:39]
	;; [unrolled: 1-line block ×3, first 2 shown]
	s_mov_b32 s12, s51
	s_mov_b32 s13, s50
	;; [unrolled: 1-line block ×3, first 2 shown]
	s_swappc_b64 s[30:31], s[16:17]
.LBB1_300:                              ;   in Loop: Header=BB1_90 Depth=1
	s_mov_b32 s4, 0
.LBB1_301:                              ;   in Loop: Header=BB1_90 Depth=1
	s_and_b32 vcc_lo, exec_lo, s4
	s_cbranch_vccz .LBB1_310
; %bb.302:                              ;   in Loop: Header=BB1_90 Depth=1
	s_sext_i32_i16 s4, s64
	s_cmpk_lt_i32 s4, 0x4e
	s_mov_b32 s4, -1
	s_cbranch_scc1 .LBB1_308
; %bb.303:                              ;   in Loop: Header=BB1_90 Depth=1
	s_cmpk_lg_i32 s65, 0x4e
	s_cbranch_scc0 .LBB1_305
; %bb.304:                              ;   in Loop: Header=BB1_90 Depth=1
	v_mov_b32_e32 v31, v40
	s_add_u32 s8, s36, 0x1000
	s_addc_u32 s9, s37, 0
	s_getpc_b64 s[16:17]
	s_add_u32 s16, s16, _Z52ncclDevFunc_ReduceScatter_RING_LL_PreMulSum_u8_0_0_2v@rel32@lo+4
	s_addc_u32 s17, s17, _Z52ncclDevFunc_ReduceScatter_RING_LL_PreMulSum_u8_0_0_2v@rel32@hi+12
	s_mov_b64 s[4:5], s[48:49]
	s_mov_b64 s[6:7], s[38:39]
	;; [unrolled: 1-line block ×3, first 2 shown]
	s_mov_b32 s12, s51
	s_mov_b32 s13, s50
	;; [unrolled: 1-line block ×3, first 2 shown]
	s_swappc_b64 s[30:31], s[16:17]
	s_mov_b32 s4, 0
.LBB1_305:                              ;   in Loop: Header=BB1_90 Depth=1
	s_andn2_b32 vcc_lo, exec_lo, s4
	s_cbranch_vccnz .LBB1_307
; %bb.306:                              ;   in Loop: Header=BB1_90 Depth=1
	v_mov_b32_e32 v31, v40
	s_add_u32 s8, s36, 0x1000
	s_addc_u32 s9, s37, 0
	s_getpc_b64 s[16:17]
	s_add_u32 s16, s16, _Z53ncclDevFunc_ReduceScatter_RING_LL_MinMax_f8e5m2_0_0_2v@rel32@lo+4
	s_addc_u32 s17, s17, _Z53ncclDevFunc_ReduceScatter_RING_LL_MinMax_f8e5m2_0_0_2v@rel32@hi+12
	s_mov_b64 s[4:5], s[48:49]
	s_mov_b64 s[6:7], s[38:39]
	;; [unrolled: 1-line block ×3, first 2 shown]
	s_mov_b32 s12, s51
	s_mov_b32 s13, s50
	;; [unrolled: 1-line block ×3, first 2 shown]
	s_swappc_b64 s[30:31], s[16:17]
.LBB1_307:                              ;   in Loop: Header=BB1_90 Depth=1
	s_mov_b32 s4, 0
.LBB1_308:                              ;   in Loop: Header=BB1_90 Depth=1
	s_andn2_b32 vcc_lo, exec_lo, s4
	s_cbranch_vccnz .LBB1_310
; %bb.309:                              ;   in Loop: Header=BB1_90 Depth=1
	v_mov_b32_e32 v31, v40
	s_add_u32 s8, s36, 0x1000
	s_addc_u32 s9, s37, 0
	s_getpc_b64 s[16:17]
	s_add_u32 s16, s16, _Z53ncclDevFunc_ReduceScatter_RING_LL_MinMax_f8e4m3_0_0_2v@rel32@lo+4
	s_addc_u32 s17, s17, _Z53ncclDevFunc_ReduceScatter_RING_LL_MinMax_f8e4m3_0_0_2v@rel32@hi+12
	s_mov_b64 s[4:5], s[48:49]
	s_mov_b64 s[6:7], s[38:39]
	;; [unrolled: 1-line block ×3, first 2 shown]
	s_mov_b32 s12, s51
	s_mov_b32 s13, s50
	;; [unrolled: 1-line block ×3, first 2 shown]
	s_swappc_b64 s[30:31], s[16:17]
.LBB1_310:                              ;   in Loop: Header=BB1_90 Depth=1
	s_mov_b32 s4, 0
.LBB1_311:                              ;   in Loop: Header=BB1_90 Depth=1
	s_andn2_b32 vcc_lo, exec_lo, s4
	s_cbranch_vccnz .LBB1_349
; %bb.312:                              ;   in Loop: Header=BB1_90 Depth=1
	s_cmpk_gt_u32 s65, 0x46
	s_mov_b32 s4, -1
	s_cbranch_scc0 .LBB1_333
; %bb.313:                              ;   in Loop: Header=BB1_90 Depth=1
	s_cmpk_gt_u32 s65, 0x49
	s_cbranch_scc0 .LBB1_323
; %bb.314:                              ;   in Loop: Header=BB1_90 Depth=1
	s_sext_i32_i16 s4, s64
	s_cmpk_lt_i32 s4, 0x4b
	s_mov_b32 s4, -1
	s_cbranch_scc1 .LBB1_320
; %bb.315:                              ;   in Loop: Header=BB1_90 Depth=1
	s_cmpk_lg_i32 s65, 0x4b
	s_cbranch_scc0 .LBB1_317
; %bb.316:                              ;   in Loop: Header=BB1_90 Depth=1
	v_mov_b32_e32 v31, v40
	s_add_u32 s8, s36, 0x1000
	s_addc_u32 s9, s37, 0
	s_getpc_b64 s[16:17]
	s_add_u32 s16, s16, _Z51ncclDevFunc_ReduceScatter_RING_LL_MinMax_bf16_0_0_2v@rel32@lo+4
	s_addc_u32 s17, s17, _Z51ncclDevFunc_ReduceScatter_RING_LL_MinMax_bf16_0_0_2v@rel32@hi+12
	s_mov_b64 s[4:5], s[48:49]
	s_mov_b64 s[6:7], s[38:39]
	;; [unrolled: 1-line block ×3, first 2 shown]
	s_mov_b32 s12, s51
	s_mov_b32 s13, s50
	;; [unrolled: 1-line block ×3, first 2 shown]
	s_swappc_b64 s[30:31], s[16:17]
	s_mov_b32 s4, 0
.LBB1_317:                              ;   in Loop: Header=BB1_90 Depth=1
	s_andn2_b32 vcc_lo, exec_lo, s4
	s_cbranch_vccnz .LBB1_319
; %bb.318:                              ;   in Loop: Header=BB1_90 Depth=1
	v_mov_b32_e32 v31, v40
	s_add_u32 s8, s36, 0x1000
	s_addc_u32 s9, s37, 0
	s_getpc_b64 s[16:17]
	s_add_u32 s16, s16, _Z50ncclDevFunc_ReduceScatter_RING_LL_MinMax_f64_0_0_2v@rel32@lo+4
	s_addc_u32 s17, s17, _Z50ncclDevFunc_ReduceScatter_RING_LL_MinMax_f64_0_0_2v@rel32@hi+12
	s_mov_b64 s[4:5], s[48:49]
	s_mov_b64 s[6:7], s[38:39]
	;; [unrolled: 1-line block ×3, first 2 shown]
	s_mov_b32 s12, s51
	s_mov_b32 s13, s50
	s_mov_b32 s14, s33
	s_swappc_b64 s[30:31], s[16:17]
.LBB1_319:                              ;   in Loop: Header=BB1_90 Depth=1
	s_mov_b32 s4, 0
.LBB1_320:                              ;   in Loop: Header=BB1_90 Depth=1
	s_andn2_b32 vcc_lo, exec_lo, s4
	s_cbranch_vccnz .LBB1_322
; %bb.321:                              ;   in Loop: Header=BB1_90 Depth=1
	v_mov_b32_e32 v31, v40
	s_add_u32 s8, s36, 0x1000
	s_addc_u32 s9, s37, 0
	s_getpc_b64 s[16:17]
	s_add_u32 s16, s16, _Z50ncclDevFunc_ReduceScatter_RING_LL_MinMax_f32_0_0_2v@rel32@lo+4
	s_addc_u32 s17, s17, _Z50ncclDevFunc_ReduceScatter_RING_LL_MinMax_f32_0_0_2v@rel32@hi+12
	s_mov_b64 s[4:5], s[48:49]
	s_mov_b64 s[6:7], s[38:39]
	;; [unrolled: 1-line block ×3, first 2 shown]
	s_mov_b32 s12, s51
	s_mov_b32 s13, s50
	;; [unrolled: 1-line block ×3, first 2 shown]
	s_swappc_b64 s[30:31], s[16:17]
.LBB1_322:                              ;   in Loop: Header=BB1_90 Depth=1
	s_mov_b32 s4, 0
.LBB1_323:                              ;   in Loop: Header=BB1_90 Depth=1
	s_and_b32 vcc_lo, exec_lo, s4
	s_cbranch_vccz .LBB1_332
; %bb.324:                              ;   in Loop: Header=BB1_90 Depth=1
	s_sext_i32_i16 s4, s64
	s_cmpk_lt_i32 s4, 0x48
	s_mov_b32 s4, -1
	s_cbranch_scc1 .LBB1_330
; %bb.325:                              ;   in Loop: Header=BB1_90 Depth=1
	s_cmpk_lg_i32 s65, 0x48
	s_cbranch_scc0 .LBB1_327
; %bb.326:                              ;   in Loop: Header=BB1_90 Depth=1
	v_mov_b32_e32 v31, v40
	s_add_u32 s8, s36, 0x1000
	s_addc_u32 s9, s37, 0
	s_getpc_b64 s[16:17]
	s_add_u32 s16, s16, _Z50ncclDevFunc_ReduceScatter_RING_LL_MinMax_f16_0_0_2v@rel32@lo+4
	s_addc_u32 s17, s17, _Z50ncclDevFunc_ReduceScatter_RING_LL_MinMax_f16_0_0_2v@rel32@hi+12
	s_mov_b64 s[4:5], s[48:49]
	s_mov_b64 s[6:7], s[38:39]
	;; [unrolled: 1-line block ×3, first 2 shown]
	s_mov_b32 s12, s51
	s_mov_b32 s13, s50
	;; [unrolled: 1-line block ×3, first 2 shown]
	s_swappc_b64 s[30:31], s[16:17]
	s_mov_b32 s4, 0
.LBB1_327:                              ;   in Loop: Header=BB1_90 Depth=1
	s_andn2_b32 vcc_lo, exec_lo, s4
	s_cbranch_vccnz .LBB1_329
; %bb.328:                              ;   in Loop: Header=BB1_90 Depth=1
	v_mov_b32_e32 v31, v40
	s_add_u32 s8, s36, 0x1000
	s_addc_u32 s9, s37, 0
	s_getpc_b64 s[16:17]
	s_add_u32 s16, s16, _Z50ncclDevFunc_ReduceScatter_RING_LL_MinMax_u64_0_0_2v@rel32@lo+4
	s_addc_u32 s17, s17, _Z50ncclDevFunc_ReduceScatter_RING_LL_MinMax_u64_0_0_2v@rel32@hi+12
	s_mov_b64 s[4:5], s[48:49]
	s_mov_b64 s[6:7], s[38:39]
	;; [unrolled: 1-line block ×3, first 2 shown]
	s_mov_b32 s12, s51
	s_mov_b32 s13, s50
	;; [unrolled: 1-line block ×3, first 2 shown]
	s_swappc_b64 s[30:31], s[16:17]
.LBB1_329:                              ;   in Loop: Header=BB1_90 Depth=1
	s_mov_b32 s4, 0
.LBB1_330:                              ;   in Loop: Header=BB1_90 Depth=1
	s_andn2_b32 vcc_lo, exec_lo, s4
	s_cbranch_vccnz .LBB1_332
; %bb.331:                              ;   in Loop: Header=BB1_90 Depth=1
	v_mov_b32_e32 v31, v40
	s_add_u32 s8, s36, 0x1000
	s_addc_u32 s9, s37, 0
	s_getpc_b64 s[16:17]
	s_add_u32 s16, s16, _Z50ncclDevFunc_ReduceScatter_RING_LL_MinMax_u32_0_0_2v@rel32@lo+4
	s_addc_u32 s17, s17, _Z50ncclDevFunc_ReduceScatter_RING_LL_MinMax_u32_0_0_2v@rel32@hi+12
	s_mov_b64 s[4:5], s[48:49]
	s_mov_b64 s[6:7], s[38:39]
	;; [unrolled: 1-line block ×3, first 2 shown]
	s_mov_b32 s12, s51
	s_mov_b32 s13, s50
	;; [unrolled: 1-line block ×3, first 2 shown]
	s_swappc_b64 s[30:31], s[16:17]
.LBB1_332:                              ;   in Loop: Header=BB1_90 Depth=1
	s_mov_b32 s4, 0
.LBB1_333:                              ;   in Loop: Header=BB1_90 Depth=1
	s_andn2_b32 vcc_lo, exec_lo, s4
	s_cbranch_vccnz .LBB1_349
; %bb.334:                              ;   in Loop: Header=BB1_90 Depth=1
	s_cmpk_gt_u32 s65, 0x43
	s_mov_b32 s4, -1
	s_cbranch_scc0 .LBB1_344
; %bb.335:                              ;   in Loop: Header=BB1_90 Depth=1
	s_sext_i32_i16 s4, s64
	s_cmpk_lt_i32 s4, 0x45
	s_mov_b32 s4, -1
	s_cbranch_scc1 .LBB1_341
; %bb.336:                              ;   in Loop: Header=BB1_90 Depth=1
	s_cmpk_lg_i32 s65, 0x45
	s_cbranch_scc0 .LBB1_338
; %bb.337:                              ;   in Loop: Header=BB1_90 Depth=1
	v_mov_b32_e32 v31, v40
	s_add_u32 s8, s36, 0x1000
	s_addc_u32 s9, s37, 0
	s_getpc_b64 s[16:17]
	s_add_u32 s16, s16, _Z49ncclDevFunc_ReduceScatter_RING_LL_MinMax_u8_0_0_2v@rel32@lo+4
	s_addc_u32 s17, s17, _Z49ncclDevFunc_ReduceScatter_RING_LL_MinMax_u8_0_0_2v@rel32@hi+12
	s_mov_b64 s[4:5], s[48:49]
	s_mov_b64 s[6:7], s[38:39]
	;; [unrolled: 1-line block ×3, first 2 shown]
	s_mov_b32 s12, s51
	s_mov_b32 s13, s50
	;; [unrolled: 1-line block ×3, first 2 shown]
	s_swappc_b64 s[30:31], s[16:17]
	s_mov_b32 s4, 0
.LBB1_338:                              ;   in Loop: Header=BB1_90 Depth=1
	s_andn2_b32 vcc_lo, exec_lo, s4
	s_cbranch_vccnz .LBB1_340
; %bb.339:                              ;   in Loop: Header=BB1_90 Depth=1
	v_mov_b32_e32 v31, v40
	s_add_u32 s8, s36, 0x1000
	s_addc_u32 s9, s37, 0
	s_getpc_b64 s[16:17]
	s_add_u32 s16, s16, _Z51ncclDevFunc_ReduceScatter_RING_LL_Prod_f8e5m2_0_0_2v@rel32@lo+4
	s_addc_u32 s17, s17, _Z51ncclDevFunc_ReduceScatter_RING_LL_Prod_f8e5m2_0_0_2v@rel32@hi+12
	s_mov_b64 s[4:5], s[48:49]
	s_mov_b64 s[6:7], s[38:39]
	;; [unrolled: 1-line block ×3, first 2 shown]
	s_mov_b32 s12, s51
	s_mov_b32 s13, s50
	;; [unrolled: 1-line block ×3, first 2 shown]
	s_swappc_b64 s[30:31], s[16:17]
.LBB1_340:                              ;   in Loop: Header=BB1_90 Depth=1
	s_mov_b32 s4, 0
.LBB1_341:                              ;   in Loop: Header=BB1_90 Depth=1
	s_andn2_b32 vcc_lo, exec_lo, s4
	s_cbranch_vccnz .LBB1_343
; %bb.342:                              ;   in Loop: Header=BB1_90 Depth=1
	v_mov_b32_e32 v31, v40
	s_add_u32 s8, s36, 0x1000
	s_addc_u32 s9, s37, 0
	s_getpc_b64 s[16:17]
	s_add_u32 s16, s16, _Z51ncclDevFunc_ReduceScatter_RING_LL_Prod_f8e4m3_0_0_2v@rel32@lo+4
	s_addc_u32 s17, s17, _Z51ncclDevFunc_ReduceScatter_RING_LL_Prod_f8e4m3_0_0_2v@rel32@hi+12
	s_mov_b64 s[4:5], s[48:49]
	s_mov_b64 s[6:7], s[38:39]
	;; [unrolled: 1-line block ×3, first 2 shown]
	s_mov_b32 s12, s51
	s_mov_b32 s13, s50
	;; [unrolled: 1-line block ×3, first 2 shown]
	s_swappc_b64 s[30:31], s[16:17]
.LBB1_343:                              ;   in Loop: Header=BB1_90 Depth=1
	s_mov_b32 s4, 0
.LBB1_344:                              ;   in Loop: Header=BB1_90 Depth=1
	s_and_b32 vcc_lo, exec_lo, s4
	s_cbranch_vccz .LBB1_349
; %bb.345:                              ;   in Loop: Header=BB1_90 Depth=1
	s_cmpk_eq_i32 s65, 0x43
	s_mov_b32 s4, -1
	s_cbranch_scc1 .LBB1_347
; %bb.346:                              ;   in Loop: Header=BB1_90 Depth=1
	v_mov_b32_e32 v31, v40
	s_add_u32 s8, s36, 0x1000
	s_addc_u32 s9, s37, 0
	s_getpc_b64 s[16:17]
	s_add_u32 s16, s16, _Z48ncclDevFunc_ReduceScatter_RING_LL_Prod_f64_0_0_2v@rel32@lo+4
	s_addc_u32 s17, s17, _Z48ncclDevFunc_ReduceScatter_RING_LL_Prod_f64_0_0_2v@rel32@hi+12
	s_mov_b64 s[4:5], s[48:49]
	s_mov_b64 s[6:7], s[38:39]
	;; [unrolled: 1-line block ×3, first 2 shown]
	s_mov_b32 s12, s51
	s_mov_b32 s13, s50
	;; [unrolled: 1-line block ×3, first 2 shown]
	s_swappc_b64 s[30:31], s[16:17]
	s_mov_b32 s4, 0
.LBB1_347:                              ;   in Loop: Header=BB1_90 Depth=1
	s_andn2_b32 vcc_lo, exec_lo, s4
	s_cbranch_vccnz .LBB1_349
; %bb.348:                              ;   in Loop: Header=BB1_90 Depth=1
	v_mov_b32_e32 v31, v40
	s_add_u32 s8, s36, 0x1000
	s_addc_u32 s9, s37, 0
	s_getpc_b64 s[16:17]
	s_add_u32 s16, s16, _Z49ncclDevFunc_ReduceScatter_RING_LL_Prod_bf16_0_0_2v@rel32@lo+4
	s_addc_u32 s17, s17, _Z49ncclDevFunc_ReduceScatter_RING_LL_Prod_bf16_0_0_2v@rel32@hi+12
	s_mov_b64 s[4:5], s[48:49]
	s_mov_b64 s[6:7], s[38:39]
	;; [unrolled: 1-line block ×3, first 2 shown]
	s_mov_b32 s12, s51
	s_mov_b32 s13, s50
	s_mov_b32 s14, s33
	s_swappc_b64 s[30:31], s[16:17]
.LBB1_349:                              ;   in Loop: Header=BB1_90 Depth=1
	s_mov_b32 s4, 0
.LBB1_350:                              ;   in Loop: Header=BB1_90 Depth=1
	s_andn2_b32 vcc_lo, exec_lo, s4
	s_cbranch_vccnz .LBB1_420
; %bb.351:                              ;   in Loop: Header=BB1_90 Depth=1
	s_cmp_gt_u32 s65, 54
	s_mov_b32 s4, -1
	s_cbranch_scc0 .LBB1_390
; %bb.352:                              ;   in Loop: Header=BB1_90 Depth=1
	s_cmp_gt_u32 s65, 59
	s_cbranch_scc0 .LBB1_373
; %bb.353:                              ;   in Loop: Header=BB1_90 Depth=1
	s_cmp_gt_u32 s65, 62
	s_cbranch_scc0 .LBB1_363
; %bb.354:                              ;   in Loop: Header=BB1_90 Depth=1
	s_sext_i32_i16 s4, s64
	s_cmp_lt_i32 s4, 64
	s_mov_b32 s4, -1
	s_cbranch_scc1 .LBB1_360
; %bb.355:                              ;   in Loop: Header=BB1_90 Depth=1
	s_cmp_lg_u32 s65, 64
	s_cbranch_scc0 .LBB1_357
; %bb.356:                              ;   in Loop: Header=BB1_90 Depth=1
	v_mov_b32_e32 v31, v40
	s_add_u32 s8, s36, 0x1000
	s_addc_u32 s9, s37, 0
	s_getpc_b64 s[16:17]
	s_add_u32 s16, s16, _Z48ncclDevFunc_ReduceScatter_RING_LL_Prod_f32_0_0_2v@rel32@lo+4
	s_addc_u32 s17, s17, _Z48ncclDevFunc_ReduceScatter_RING_LL_Prod_f32_0_0_2v@rel32@hi+12
	s_mov_b64 s[4:5], s[48:49]
	s_mov_b64 s[6:7], s[38:39]
	;; [unrolled: 1-line block ×3, first 2 shown]
	s_mov_b32 s12, s51
	s_mov_b32 s13, s50
	;; [unrolled: 1-line block ×3, first 2 shown]
	s_swappc_b64 s[30:31], s[16:17]
	s_mov_b32 s4, 0
.LBB1_357:                              ;   in Loop: Header=BB1_90 Depth=1
	s_andn2_b32 vcc_lo, exec_lo, s4
	s_cbranch_vccnz .LBB1_359
; %bb.358:                              ;   in Loop: Header=BB1_90 Depth=1
	v_mov_b32_e32 v31, v40
	s_add_u32 s8, s36, 0x1000
	s_addc_u32 s9, s37, 0
	s_getpc_b64 s[16:17]
	s_add_u32 s16, s16, _Z48ncclDevFunc_ReduceScatter_RING_LL_Prod_f16_0_0_2v@rel32@lo+4
	s_addc_u32 s17, s17, _Z48ncclDevFunc_ReduceScatter_RING_LL_Prod_f16_0_0_2v@rel32@hi+12
	s_mov_b64 s[4:5], s[48:49]
	s_mov_b64 s[6:7], s[38:39]
	;; [unrolled: 1-line block ×3, first 2 shown]
	s_mov_b32 s12, s51
	s_mov_b32 s13, s50
	;; [unrolled: 1-line block ×3, first 2 shown]
	s_swappc_b64 s[30:31], s[16:17]
.LBB1_359:                              ;   in Loop: Header=BB1_90 Depth=1
	s_mov_b32 s4, 0
.LBB1_360:                              ;   in Loop: Header=BB1_90 Depth=1
	s_andn2_b32 vcc_lo, exec_lo, s4
	s_cbranch_vccnz .LBB1_362
; %bb.361:                              ;   in Loop: Header=BB1_90 Depth=1
	v_mov_b32_e32 v31, v40
	s_add_u32 s8, s36, 0x1000
	s_addc_u32 s9, s37, 0
	s_getpc_b64 s[16:17]
	s_add_u32 s16, s16, _Z48ncclDevFunc_ReduceScatter_RING_LL_Prod_u64_0_0_2v@rel32@lo+4
	s_addc_u32 s17, s17, _Z48ncclDevFunc_ReduceScatter_RING_LL_Prod_u64_0_0_2v@rel32@hi+12
	s_mov_b64 s[4:5], s[48:49]
	s_mov_b64 s[6:7], s[38:39]
	;; [unrolled: 1-line block ×3, first 2 shown]
	s_mov_b32 s12, s51
	s_mov_b32 s13, s50
	;; [unrolled: 1-line block ×3, first 2 shown]
	s_swappc_b64 s[30:31], s[16:17]
.LBB1_362:                              ;   in Loop: Header=BB1_90 Depth=1
	s_mov_b32 s4, 0
.LBB1_363:                              ;   in Loop: Header=BB1_90 Depth=1
	s_and_b32 vcc_lo, exec_lo, s4
	s_cbranch_vccz .LBB1_372
; %bb.364:                              ;   in Loop: Header=BB1_90 Depth=1
	s_sext_i32_i16 s4, s64
	s_cmp_lt_i32 s4, 61
	s_mov_b32 s4, -1
	s_cbranch_scc1 .LBB1_370
; %bb.365:                              ;   in Loop: Header=BB1_90 Depth=1
	s_cmp_lg_u32 s65, 61
	s_cbranch_scc0 .LBB1_367
; %bb.366:                              ;   in Loop: Header=BB1_90 Depth=1
	v_mov_b32_e32 v31, v40
	s_add_u32 s8, s36, 0x1000
	s_addc_u32 s9, s37, 0
	s_getpc_b64 s[16:17]
	s_add_u32 s16, s16, _Z48ncclDevFunc_ReduceScatter_RING_LL_Prod_u32_0_0_2v@rel32@lo+4
	s_addc_u32 s17, s17, _Z48ncclDevFunc_ReduceScatter_RING_LL_Prod_u32_0_0_2v@rel32@hi+12
	s_mov_b64 s[4:5], s[48:49]
	s_mov_b64 s[6:7], s[38:39]
	;; [unrolled: 1-line block ×3, first 2 shown]
	s_mov_b32 s12, s51
	s_mov_b32 s13, s50
	;; [unrolled: 1-line block ×3, first 2 shown]
	s_swappc_b64 s[30:31], s[16:17]
	s_mov_b32 s4, 0
.LBB1_367:                              ;   in Loop: Header=BB1_90 Depth=1
	s_andn2_b32 vcc_lo, exec_lo, s4
	s_cbranch_vccnz .LBB1_369
; %bb.368:                              ;   in Loop: Header=BB1_90 Depth=1
	v_mov_b32_e32 v31, v40
	s_add_u32 s8, s36, 0x1000
	s_addc_u32 s9, s37, 0
	s_getpc_b64 s[16:17]
	s_add_u32 s16, s16, _Z47ncclDevFunc_ReduceScatter_RING_LL_Prod_u8_0_0_2v@rel32@lo+4
	s_addc_u32 s17, s17, _Z47ncclDevFunc_ReduceScatter_RING_LL_Prod_u8_0_0_2v@rel32@hi+12
	s_mov_b64 s[4:5], s[48:49]
	s_mov_b64 s[6:7], s[38:39]
	;; [unrolled: 1-line block ×3, first 2 shown]
	s_mov_b32 s12, s51
	s_mov_b32 s13, s50
	;; [unrolled: 1-line block ×3, first 2 shown]
	s_swappc_b64 s[30:31], s[16:17]
.LBB1_369:                              ;   in Loop: Header=BB1_90 Depth=1
	s_mov_b32 s4, 0
.LBB1_370:                              ;   in Loop: Header=BB1_90 Depth=1
	s_andn2_b32 vcc_lo, exec_lo, s4
	s_cbranch_vccnz .LBB1_372
; %bb.371:                              ;   in Loop: Header=BB1_90 Depth=1
	v_mov_b32_e32 v31, v40
	s_add_u32 s8, s36, 0x1000
	s_addc_u32 s9, s37, 0
	s_getpc_b64 s[16:17]
	s_add_u32 s16, s16, _Z50ncclDevFunc_ReduceScatter_RING_LL_Sum_f8e5m2_0_0_2v@rel32@lo+4
	s_addc_u32 s17, s17, _Z50ncclDevFunc_ReduceScatter_RING_LL_Sum_f8e5m2_0_0_2v@rel32@hi+12
	s_mov_b64 s[4:5], s[48:49]
	s_mov_b64 s[6:7], s[38:39]
	;; [unrolled: 1-line block ×3, first 2 shown]
	s_mov_b32 s12, s51
	s_mov_b32 s13, s50
	;; [unrolled: 1-line block ×3, first 2 shown]
	s_swappc_b64 s[30:31], s[16:17]
.LBB1_372:                              ;   in Loop: Header=BB1_90 Depth=1
	s_mov_b32 s4, 0
.LBB1_373:                              ;   in Loop: Header=BB1_90 Depth=1
	s_andn2_b32 vcc_lo, exec_lo, s4
	s_cbranch_vccnz .LBB1_389
; %bb.374:                              ;   in Loop: Header=BB1_90 Depth=1
	s_cmp_gt_u32 s65, 56
	s_mov_b32 s4, -1
	s_cbranch_scc0 .LBB1_384
; %bb.375:                              ;   in Loop: Header=BB1_90 Depth=1
	s_sext_i32_i16 s4, s64
	s_cmp_lt_i32 s4, 58
	s_mov_b32 s4, -1
	s_cbranch_scc1 .LBB1_381
; %bb.376:                              ;   in Loop: Header=BB1_90 Depth=1
	s_cmp_lg_u32 s65, 58
	s_cbranch_scc0 .LBB1_378
; %bb.377:                              ;   in Loop: Header=BB1_90 Depth=1
	v_mov_b32_e32 v31, v40
	s_add_u32 s8, s36, 0x1000
	s_addc_u32 s9, s37, 0
	s_getpc_b64 s[16:17]
	s_add_u32 s16, s16, _Z50ncclDevFunc_ReduceScatter_RING_LL_Sum_f8e4m3_0_0_2v@rel32@lo+4
	s_addc_u32 s17, s17, _Z50ncclDevFunc_ReduceScatter_RING_LL_Sum_f8e4m3_0_0_2v@rel32@hi+12
	s_mov_b64 s[4:5], s[48:49]
	s_mov_b64 s[6:7], s[38:39]
	;; [unrolled: 1-line block ×3, first 2 shown]
	s_mov_b32 s12, s51
	s_mov_b32 s13, s50
	;; [unrolled: 1-line block ×3, first 2 shown]
	s_swappc_b64 s[30:31], s[16:17]
	s_mov_b32 s4, 0
.LBB1_378:                              ;   in Loop: Header=BB1_90 Depth=1
	s_andn2_b32 vcc_lo, exec_lo, s4
	s_cbranch_vccnz .LBB1_380
; %bb.379:                              ;   in Loop: Header=BB1_90 Depth=1
	v_mov_b32_e32 v31, v40
	s_add_u32 s8, s36, 0x1000
	s_addc_u32 s9, s37, 0
	s_getpc_b64 s[16:17]
	s_add_u32 s16, s16, _Z48ncclDevFunc_ReduceScatter_RING_LL_Sum_bf16_0_0_2v@rel32@lo+4
	s_addc_u32 s17, s17, _Z48ncclDevFunc_ReduceScatter_RING_LL_Sum_bf16_0_0_2v@rel32@hi+12
	s_mov_b64 s[4:5], s[48:49]
	s_mov_b64 s[6:7], s[38:39]
	;; [unrolled: 1-line block ×3, first 2 shown]
	s_mov_b32 s12, s51
	s_mov_b32 s13, s50
	;; [unrolled: 1-line block ×3, first 2 shown]
	s_swappc_b64 s[30:31], s[16:17]
.LBB1_380:                              ;   in Loop: Header=BB1_90 Depth=1
	s_mov_b32 s4, 0
.LBB1_381:                              ;   in Loop: Header=BB1_90 Depth=1
	s_andn2_b32 vcc_lo, exec_lo, s4
	s_cbranch_vccnz .LBB1_383
; %bb.382:                              ;   in Loop: Header=BB1_90 Depth=1
	v_mov_b32_e32 v31, v40
	s_add_u32 s8, s36, 0x1000
	s_addc_u32 s9, s37, 0
	s_getpc_b64 s[16:17]
	s_add_u32 s16, s16, _Z47ncclDevFunc_ReduceScatter_RING_LL_Sum_f64_0_0_2v@rel32@lo+4
	s_addc_u32 s17, s17, _Z47ncclDevFunc_ReduceScatter_RING_LL_Sum_f64_0_0_2v@rel32@hi+12
	s_mov_b64 s[4:5], s[48:49]
	s_mov_b64 s[6:7], s[38:39]
	;; [unrolled: 1-line block ×3, first 2 shown]
	s_mov_b32 s12, s51
	s_mov_b32 s13, s50
	;; [unrolled: 1-line block ×3, first 2 shown]
	s_swappc_b64 s[30:31], s[16:17]
.LBB1_383:                              ;   in Loop: Header=BB1_90 Depth=1
	s_mov_b32 s4, 0
.LBB1_384:                              ;   in Loop: Header=BB1_90 Depth=1
	s_and_b32 vcc_lo, exec_lo, s4
	s_cbranch_vccz .LBB1_389
; %bb.385:                              ;   in Loop: Header=BB1_90 Depth=1
	s_cmp_eq_u32 s65, 56
	s_mov_b32 s4, -1
	s_cbranch_scc1 .LBB1_387
; %bb.386:                              ;   in Loop: Header=BB1_90 Depth=1
	v_mov_b32_e32 v31, v40
	s_add_u32 s8, s36, 0x1000
	s_addc_u32 s9, s37, 0
	s_getpc_b64 s[16:17]
	s_add_u32 s16, s16, _Z47ncclDevFunc_ReduceScatter_RING_LL_Sum_f16_0_0_2v@rel32@lo+4
	s_addc_u32 s17, s17, _Z47ncclDevFunc_ReduceScatter_RING_LL_Sum_f16_0_0_2v@rel32@hi+12
	s_mov_b64 s[4:5], s[48:49]
	s_mov_b64 s[6:7], s[38:39]
	;; [unrolled: 1-line block ×3, first 2 shown]
	s_mov_b32 s12, s51
	s_mov_b32 s13, s50
	;; [unrolled: 1-line block ×3, first 2 shown]
	s_swappc_b64 s[30:31], s[16:17]
	s_mov_b32 s4, 0
.LBB1_387:                              ;   in Loop: Header=BB1_90 Depth=1
	s_andn2_b32 vcc_lo, exec_lo, s4
	s_cbranch_vccnz .LBB1_389
; %bb.388:                              ;   in Loop: Header=BB1_90 Depth=1
	v_mov_b32_e32 v31, v40
	s_add_u32 s8, s36, 0x1000
	s_addc_u32 s9, s37, 0
	s_getpc_b64 s[16:17]
	s_add_u32 s16, s16, _Z47ncclDevFunc_ReduceScatter_RING_LL_Sum_f32_0_0_2v@rel32@lo+4
	s_addc_u32 s17, s17, _Z47ncclDevFunc_ReduceScatter_RING_LL_Sum_f32_0_0_2v@rel32@hi+12
	s_mov_b64 s[4:5], s[48:49]
	s_mov_b64 s[6:7], s[38:39]
	;; [unrolled: 1-line block ×3, first 2 shown]
	s_mov_b32 s12, s51
	s_mov_b32 s13, s50
	;; [unrolled: 1-line block ×3, first 2 shown]
	s_swappc_b64 s[30:31], s[16:17]
.LBB1_389:                              ;   in Loop: Header=BB1_90 Depth=1
	s_mov_b32 s4, 0
.LBB1_390:                              ;   in Loop: Header=BB1_90 Depth=1
	s_andn2_b32 vcc_lo, exec_lo, s4
	s_cbranch_vccnz .LBB1_420
; %bb.391:                              ;   in Loop: Header=BB1_90 Depth=1
	s_cmp_gt_u32 s65, 48
	s_mov_b32 s4, -1
	s_cbranch_scc0 .LBB1_408
; %bb.392:                              ;   in Loop: Header=BB1_90 Depth=1
	s_cmp_gt_u32 s65, 51
	s_cbranch_scc0 .LBB1_402
; %bb.393:                              ;   in Loop: Header=BB1_90 Depth=1
	s_sext_i32_i16 s4, s64
	s_cmp_lt_i32 s4, 53
	s_mov_b32 s4, -1
	s_cbranch_scc1 .LBB1_399
; %bb.394:                              ;   in Loop: Header=BB1_90 Depth=1
	s_cmp_lg_u32 s65, 53
	s_cbranch_scc0 .LBB1_396
; %bb.395:                              ;   in Loop: Header=BB1_90 Depth=1
	v_mov_b32_e32 v31, v40
	s_add_u32 s8, s36, 0x1000
	s_addc_u32 s9, s37, 0
	s_getpc_b64 s[16:17]
	s_add_u32 s16, s16, _Z47ncclDevFunc_ReduceScatter_RING_LL_Sum_u64_0_0_2v@rel32@lo+4
	s_addc_u32 s17, s17, _Z47ncclDevFunc_ReduceScatter_RING_LL_Sum_u64_0_0_2v@rel32@hi+12
	s_mov_b64 s[4:5], s[48:49]
	s_mov_b64 s[6:7], s[38:39]
	;; [unrolled: 1-line block ×3, first 2 shown]
	s_mov_b32 s12, s51
	s_mov_b32 s13, s50
	;; [unrolled: 1-line block ×3, first 2 shown]
	s_swappc_b64 s[30:31], s[16:17]
	s_mov_b32 s4, 0
.LBB1_396:                              ;   in Loop: Header=BB1_90 Depth=1
	s_andn2_b32 vcc_lo, exec_lo, s4
	s_cbranch_vccnz .LBB1_398
; %bb.397:                              ;   in Loop: Header=BB1_90 Depth=1
	v_mov_b32_e32 v31, v40
	s_add_u32 s8, s36, 0x1000
	s_addc_u32 s9, s37, 0
	s_getpc_b64 s[16:17]
	s_add_u32 s16, s16, _Z47ncclDevFunc_ReduceScatter_RING_LL_Sum_u32_0_0_2v@rel32@lo+4
	s_addc_u32 s17, s17, _Z47ncclDevFunc_ReduceScatter_RING_LL_Sum_u32_0_0_2v@rel32@hi+12
	s_mov_b64 s[4:5], s[48:49]
	s_mov_b64 s[6:7], s[38:39]
	;; [unrolled: 1-line block ×3, first 2 shown]
	s_mov_b32 s12, s51
	s_mov_b32 s13, s50
	;; [unrolled: 1-line block ×3, first 2 shown]
	s_swappc_b64 s[30:31], s[16:17]
.LBB1_398:                              ;   in Loop: Header=BB1_90 Depth=1
	s_mov_b32 s4, 0
.LBB1_399:                              ;   in Loop: Header=BB1_90 Depth=1
	s_andn2_b32 vcc_lo, exec_lo, s4
	s_cbranch_vccnz .LBB1_401
; %bb.400:                              ;   in Loop: Header=BB1_90 Depth=1
	v_mov_b32_e32 v31, v40
	s_add_u32 s8, s36, 0x1000
	s_addc_u32 s9, s37, 0
	s_getpc_b64 s[16:17]
	s_add_u32 s16, s16, _Z46ncclDevFunc_ReduceScatter_RING_LL_Sum_u8_0_0_2v@rel32@lo+4
	s_addc_u32 s17, s17, _Z46ncclDevFunc_ReduceScatter_RING_LL_Sum_u8_0_0_2v@rel32@hi+12
	s_mov_b64 s[4:5], s[48:49]
	s_mov_b64 s[6:7], s[38:39]
	;; [unrolled: 1-line block ×3, first 2 shown]
	s_mov_b32 s12, s51
	s_mov_b32 s13, s50
	;; [unrolled: 1-line block ×3, first 2 shown]
	s_swappc_b64 s[30:31], s[16:17]
.LBB1_401:                              ;   in Loop: Header=BB1_90 Depth=1
	s_mov_b32 s4, 0
.LBB1_402:                              ;   in Loop: Header=BB1_90 Depth=1
	s_and_b32 vcc_lo, exec_lo, s4
	s_cbranch_vccz .LBB1_407
; %bb.403:                              ;   in Loop: Header=BB1_90 Depth=1
	s_cmp_lg_u32 s65, 49
	s_mov_b32 s4, -1
	s_cbranch_scc0 .LBB1_405
; %bb.404:                              ;   in Loop: Header=BB1_90 Depth=1
	v_mov_b32_e32 v31, v40
	s_add_u32 s8, s36, 0x1000
	s_addc_u32 s9, s37, 0
	s_getpc_b64 s[16:17]
	s_add_u32 s16, s16, _Z45ncclDevFunc_AllGather_PAT_SIMPLE_Sum_i8_0_0_2v@rel32@lo+4
	s_addc_u32 s17, s17, _Z45ncclDevFunc_AllGather_PAT_SIMPLE_Sum_i8_0_0_2v@rel32@hi+12
	s_mov_b64 s[4:5], s[48:49]
	s_mov_b64 s[6:7], s[38:39]
	;; [unrolled: 1-line block ×3, first 2 shown]
	s_mov_b32 s12, s51
	s_mov_b32 s13, s50
	;; [unrolled: 1-line block ×3, first 2 shown]
	s_swappc_b64 s[30:31], s[16:17]
	s_mov_b32 s4, 0
.LBB1_405:                              ;   in Loop: Header=BB1_90 Depth=1
	s_andn2_b32 vcc_lo, exec_lo, s4
	s_cbranch_vccnz .LBB1_407
; %bb.406:                              ;   in Loop: Header=BB1_90 Depth=1
	v_mov_b32_e32 v31, v40
	s_add_u32 s8, s36, 0x1000
	s_addc_u32 s9, s37, 0
	s_getpc_b64 s[16:17]
	s_add_u32 s16, s16, _Z41ncclDevFunc_AllGather_PAT_LL_Sum_i8_0_0_2v@rel32@lo+4
	s_addc_u32 s17, s17, _Z41ncclDevFunc_AllGather_PAT_LL_Sum_i8_0_0_2v@rel32@hi+12
	s_mov_b64 s[4:5], s[48:49]
	s_mov_b64 s[6:7], s[38:39]
	;; [unrolled: 1-line block ×3, first 2 shown]
	s_mov_b32 s12, s51
	s_mov_b32 s13, s50
	;; [unrolled: 1-line block ×3, first 2 shown]
	s_swappc_b64 s[30:31], s[16:17]
.LBB1_407:                              ;   in Loop: Header=BB1_90 Depth=1
	s_mov_b32 s4, 0
.LBB1_408:                              ;   in Loop: Header=BB1_90 Depth=1
	s_andn2_b32 vcc_lo, exec_lo, s4
	s_cbranch_vccnz .LBB1_420
; %bb.409:                              ;   in Loop: Header=BB1_90 Depth=1
	s_cmp_gt_u32 s65, 45
	s_mov_b32 s4, -1
	s_cbranch_scc0 .LBB1_415
; %bb.410:                              ;   in Loop: Header=BB1_90 Depth=1
	s_cmp_lg_u32 s65, 46
	s_cbranch_scc0 .LBB1_412
; %bb.411:                              ;   in Loop: Header=BB1_90 Depth=1
	v_mov_b32_e32 v31, v40
	s_add_u32 s8, s36, 0x1000
	s_addc_u32 s9, s37, 0
	s_getpc_b64 s[16:17]
	s_add_u32 s16, s16, _Z46ncclDevFunc_AllGather_RING_SIMPLE_Sum_i8_0_0_2v@rel32@lo+4
	s_addc_u32 s17, s17, _Z46ncclDevFunc_AllGather_RING_SIMPLE_Sum_i8_0_0_2v@rel32@hi+12
	s_mov_b64 s[4:5], s[48:49]
	s_mov_b64 s[6:7], s[38:39]
	;; [unrolled: 1-line block ×3, first 2 shown]
	s_mov_b32 s12, s51
	s_mov_b32 s13, s50
	;; [unrolled: 1-line block ×3, first 2 shown]
	s_swappc_b64 s[30:31], s[16:17]
	s_mov_b32 s4, 0
.LBB1_412:                              ;   in Loop: Header=BB1_90 Depth=1
	s_andn2_b32 vcc_lo, exec_lo, s4
	s_cbranch_vccnz .LBB1_414
; %bb.413:                              ;   in Loop: Header=BB1_90 Depth=1
	v_mov_b32_e32 v31, v40
	s_add_u32 s8, s36, 0x1000
	s_addc_u32 s9, s37, 0
	s_getpc_b64 s[16:17]
	s_add_u32 s16, s16, _Z42ncclDevFunc_AllGather_RING_LL_Sum_i8_0_0_2v@rel32@lo+4
	s_addc_u32 s17, s17, _Z42ncclDevFunc_AllGather_RING_LL_Sum_i8_0_0_2v@rel32@hi+12
	s_mov_b64 s[4:5], s[48:49]
	s_mov_b64 s[6:7], s[38:39]
	;; [unrolled: 1-line block ×3, first 2 shown]
	s_mov_b32 s12, s51
	s_mov_b32 s13, s50
	;; [unrolled: 1-line block ×3, first 2 shown]
	s_swappc_b64 s[30:31], s[16:17]
.LBB1_414:                              ;   in Loop: Header=BB1_90 Depth=1
	s_mov_b32 s4, 0
.LBB1_415:                              ;   in Loop: Header=BB1_90 Depth=1
	s_andn2_b32 vcc_lo, exec_lo, s4
	s_cbranch_vccnz .LBB1_420
; %bb.416:                              ;   in Loop: Header=BB1_90 Depth=1
	s_cmp_eq_u32 s65, 45
	s_mov_b32 s4, -1
	s_cbranch_scc1 .LBB1_418
; %bb.417:                              ;   in Loop: Header=BB1_90 Depth=1
	v_mov_b32_e32 v31, v40
	s_add_u32 s8, s36, 0x1000
	s_addc_u32 s9, s37, 0
	s_getpc_b64 s[16:17]
	s_add_u32 s16, s16, _Z51ncclDevFunc_Reduce_RING_SIMPLE_SumPostDiv_u32_0_0_2v@rel32@lo+4
	s_addc_u32 s17, s17, _Z51ncclDevFunc_Reduce_RING_SIMPLE_SumPostDiv_u32_0_0_2v@rel32@hi+12
	s_mov_b64 s[4:5], s[48:49]
	s_mov_b64 s[6:7], s[38:39]
	;; [unrolled: 1-line block ×3, first 2 shown]
	s_mov_b32 s12, s51
	s_mov_b32 s13, s50
	;; [unrolled: 1-line block ×3, first 2 shown]
	s_swappc_b64 s[30:31], s[16:17]
	s_mov_b32 s4, 0
.LBB1_418:                              ;   in Loop: Header=BB1_90 Depth=1
	s_andn2_b32 vcc_lo, exec_lo, s4
	s_cbranch_vccnz .LBB1_420
; %bb.419:                              ;   in Loop: Header=BB1_90 Depth=1
	v_mov_b32_e32 v31, v40
	s_add_u32 s8, s36, 0x1000
	s_addc_u32 s9, s37, 0
	s_getpc_b64 s[16:17]
	s_add_u32 s16, s16, _Z51ncclDevFunc_Reduce_RING_SIMPLE_SumPostDiv_u64_0_0_2v@rel32@lo+4
	s_addc_u32 s17, s17, _Z51ncclDevFunc_Reduce_RING_SIMPLE_SumPostDiv_u64_0_0_2v@rel32@hi+12
	s_mov_b64 s[4:5], s[48:49]
	s_mov_b64 s[6:7], s[38:39]
	;; [unrolled: 1-line block ×3, first 2 shown]
	s_mov_b32 s12, s51
	s_mov_b32 s13, s50
	;; [unrolled: 1-line block ×3, first 2 shown]
	s_swappc_b64 s[30:31], s[16:17]
.LBB1_420:                              ;   in Loop: Header=BB1_90 Depth=1
	s_mov_b32 s4, 0
.LBB1_421:                              ;   in Loop: Header=BB1_90 Depth=1
	s_andn2_b32 vcc_lo, exec_lo, s4
	s_cbranch_vccnz .LBB1_576
; %bb.422:                              ;   in Loop: Header=BB1_90 Depth=1
	s_cmp_gt_u32 s65, 21
	s_mov_b32 s4, -1
	s_cbranch_scc0 .LBB1_501
; %bb.423:                              ;   in Loop: Header=BB1_90 Depth=1
	s_cmp_gt_u32 s65, 32
	s_cbranch_scc0 .LBB1_462
; %bb.424:                              ;   in Loop: Header=BB1_90 Depth=1
	s_cmp_gt_u32 s65, 37
	;; [unrolled: 3-line block ×3, first 2 shown]
	s_cbranch_scc0 .LBB1_435
; %bb.426:                              ;   in Loop: Header=BB1_90 Depth=1
	s_sext_i32_i16 s4, s64
	s_cmp_lt_i32 s4, 42
	s_mov_b32 s4, -1
	s_cbranch_scc1 .LBB1_432
; %bb.427:                              ;   in Loop: Header=BB1_90 Depth=1
	s_cmp_lg_u32 s65, 42
	s_cbranch_scc0 .LBB1_429
; %bb.428:                              ;   in Loop: Header=BB1_90 Depth=1
	v_mov_b32_e32 v31, v40
	s_add_u32 s8, s36, 0x1000
	s_addc_u32 s9, s37, 0
	s_getpc_b64 s[16:17]
	s_add_u32 s16, s16, _Z50ncclDevFunc_Reduce_RING_SIMPLE_SumPostDiv_u8_0_0_2v@rel32@lo+4
	s_addc_u32 s17, s17, _Z50ncclDevFunc_Reduce_RING_SIMPLE_SumPostDiv_u8_0_0_2v@rel32@hi+12
	s_mov_b64 s[4:5], s[48:49]
	s_mov_b64 s[6:7], s[38:39]
	s_mov_b64 s[10:11], s[34:35]
	s_mov_b32 s12, s51
	s_mov_b32 s13, s50
	;; [unrolled: 1-line block ×3, first 2 shown]
	s_swappc_b64 s[30:31], s[16:17]
	s_mov_b32 s4, 0
.LBB1_429:                              ;   in Loop: Header=BB1_90 Depth=1
	s_andn2_b32 vcc_lo, exec_lo, s4
	s_cbranch_vccnz .LBB1_431
; %bb.430:                              ;   in Loop: Header=BB1_90 Depth=1
	v_mov_b32_e32 v31, v40
	s_add_u32 s8, s36, 0x1000
	s_addc_u32 s9, s37, 0
	s_getpc_b64 s[16:17]
	s_add_u32 s16, s16, _Z53ncclDevFunc_Reduce_RING_SIMPLE_PreMulSum_f8e5m2_0_0_2v@rel32@lo+4
	s_addc_u32 s17, s17, _Z53ncclDevFunc_Reduce_RING_SIMPLE_PreMulSum_f8e5m2_0_0_2v@rel32@hi+12
	s_mov_b64 s[4:5], s[48:49]
	s_mov_b64 s[6:7], s[38:39]
	s_mov_b64 s[10:11], s[34:35]
	s_mov_b32 s12, s51
	s_mov_b32 s13, s50
	;; [unrolled: 1-line block ×3, first 2 shown]
	s_swappc_b64 s[30:31], s[16:17]
.LBB1_431:                              ;   in Loop: Header=BB1_90 Depth=1
	s_mov_b32 s4, 0
.LBB1_432:                              ;   in Loop: Header=BB1_90 Depth=1
	s_andn2_b32 vcc_lo, exec_lo, s4
	s_cbranch_vccnz .LBB1_434
; %bb.433:                              ;   in Loop: Header=BB1_90 Depth=1
	v_mov_b32_e32 v31, v40
	s_add_u32 s8, s36, 0x1000
	s_addc_u32 s9, s37, 0
	s_getpc_b64 s[16:17]
	s_add_u32 s16, s16, _Z53ncclDevFunc_Reduce_RING_SIMPLE_PreMulSum_f8e4m3_0_0_2v@rel32@lo+4
	s_addc_u32 s17, s17, _Z53ncclDevFunc_Reduce_RING_SIMPLE_PreMulSum_f8e4m3_0_0_2v@rel32@hi+12
	s_mov_b64 s[4:5], s[48:49]
	s_mov_b64 s[6:7], s[38:39]
	;; [unrolled: 1-line block ×3, first 2 shown]
	s_mov_b32 s12, s51
	s_mov_b32 s13, s50
	;; [unrolled: 1-line block ×3, first 2 shown]
	s_swappc_b64 s[30:31], s[16:17]
.LBB1_434:                              ;   in Loop: Header=BB1_90 Depth=1
	s_mov_b32 s4, 0
.LBB1_435:                              ;   in Loop: Header=BB1_90 Depth=1
	s_and_b32 vcc_lo, exec_lo, s4
	s_cbranch_vccz .LBB1_444
; %bb.436:                              ;   in Loop: Header=BB1_90 Depth=1
	s_sext_i32_i16 s4, s64
	s_cmp_lt_i32 s4, 39
	s_mov_b32 s4, -1
	s_cbranch_scc1 .LBB1_442
; %bb.437:                              ;   in Loop: Header=BB1_90 Depth=1
	s_cmp_lg_u32 s65, 39
	s_cbranch_scc0 .LBB1_439
; %bb.438:                              ;   in Loop: Header=BB1_90 Depth=1
	v_mov_b32_e32 v31, v40
	s_add_u32 s8, s36, 0x1000
	s_addc_u32 s9, s37, 0
	s_getpc_b64 s[16:17]
	s_add_u32 s16, s16, _Z51ncclDevFunc_Reduce_RING_SIMPLE_PreMulSum_bf16_0_1_2v@rel32@lo+4
	s_addc_u32 s17, s17, _Z51ncclDevFunc_Reduce_RING_SIMPLE_PreMulSum_bf16_0_1_2v@rel32@hi+12
	s_mov_b64 s[4:5], s[48:49]
	s_mov_b64 s[6:7], s[38:39]
	;; [unrolled: 1-line block ×3, first 2 shown]
	s_mov_b32 s12, s51
	s_mov_b32 s13, s50
	;; [unrolled: 1-line block ×3, first 2 shown]
	s_swappc_b64 s[30:31], s[16:17]
	s_mov_b32 s4, 0
.LBB1_439:                              ;   in Loop: Header=BB1_90 Depth=1
	s_andn2_b32 vcc_lo, exec_lo, s4
	s_cbranch_vccnz .LBB1_441
; %bb.440:                              ;   in Loop: Header=BB1_90 Depth=1
	v_mov_b32_e32 v31, v40
	s_add_u32 s8, s36, 0x1000
	s_addc_u32 s9, s37, 0
	s_getpc_b64 s[16:17]
	s_add_u32 s16, s16, _Z51ncclDevFunc_Reduce_RING_SIMPLE_PreMulSum_bf16_0_0_2v@rel32@lo+4
	s_addc_u32 s17, s17, _Z51ncclDevFunc_Reduce_RING_SIMPLE_PreMulSum_bf16_0_0_2v@rel32@hi+12
	s_mov_b64 s[4:5], s[48:49]
	s_mov_b64 s[6:7], s[38:39]
	;; [unrolled: 1-line block ×3, first 2 shown]
	s_mov_b32 s12, s51
	s_mov_b32 s13, s50
	;; [unrolled: 1-line block ×3, first 2 shown]
	s_swappc_b64 s[30:31], s[16:17]
.LBB1_441:                              ;   in Loop: Header=BB1_90 Depth=1
	s_mov_b32 s4, 0
.LBB1_442:                              ;   in Loop: Header=BB1_90 Depth=1
	s_andn2_b32 vcc_lo, exec_lo, s4
	s_cbranch_vccnz .LBB1_444
; %bb.443:                              ;   in Loop: Header=BB1_90 Depth=1
	v_mov_b32_e32 v31, v40
	s_add_u32 s8, s36, 0x1000
	s_addc_u32 s9, s37, 0
	s_getpc_b64 s[16:17]
	s_add_u32 s16, s16, _Z50ncclDevFunc_Reduce_RING_SIMPLE_PreMulSum_f64_0_0_2v@rel32@lo+4
	s_addc_u32 s17, s17, _Z50ncclDevFunc_Reduce_RING_SIMPLE_PreMulSum_f64_0_0_2v@rel32@hi+12
	s_mov_b64 s[4:5], s[48:49]
	s_mov_b64 s[6:7], s[38:39]
	;; [unrolled: 1-line block ×3, first 2 shown]
	s_mov_b32 s12, s51
	s_mov_b32 s13, s50
	s_mov_b32 s14, s33
	s_swappc_b64 s[30:31], s[16:17]
.LBB1_444:                              ;   in Loop: Header=BB1_90 Depth=1
	s_mov_b32 s4, 0
.LBB1_445:                              ;   in Loop: Header=BB1_90 Depth=1
	s_andn2_b32 vcc_lo, exec_lo, s4
	s_cbranch_vccnz .LBB1_461
; %bb.446:                              ;   in Loop: Header=BB1_90 Depth=1
	s_cmp_gt_u32 s65, 34
	s_mov_b32 s4, -1
	s_cbranch_scc0 .LBB1_456
; %bb.447:                              ;   in Loop: Header=BB1_90 Depth=1
	s_sext_i32_i16 s4, s64
	s_cmp_lt_i32 s4, 36
	s_mov_b32 s4, -1
	s_cbranch_scc1 .LBB1_453
; %bb.448:                              ;   in Loop: Header=BB1_90 Depth=1
	s_cmp_lg_u32 s65, 36
	s_cbranch_scc0 .LBB1_450
; %bb.449:                              ;   in Loop: Header=BB1_90 Depth=1
	v_mov_b32_e32 v31, v40
	s_add_u32 s8, s36, 0x1000
	s_addc_u32 s9, s37, 0
	s_getpc_b64 s[16:17]
	s_add_u32 s16, s16, _Z50ncclDevFunc_Reduce_RING_SIMPLE_PreMulSum_f32_0_0_2v@rel32@lo+4
	s_addc_u32 s17, s17, _Z50ncclDevFunc_Reduce_RING_SIMPLE_PreMulSum_f32_0_0_2v@rel32@hi+12
	s_mov_b64 s[4:5], s[48:49]
	s_mov_b64 s[6:7], s[38:39]
	;; [unrolled: 1-line block ×3, first 2 shown]
	s_mov_b32 s12, s51
	s_mov_b32 s13, s50
	;; [unrolled: 1-line block ×3, first 2 shown]
	s_swappc_b64 s[30:31], s[16:17]
	s_mov_b32 s4, 0
.LBB1_450:                              ;   in Loop: Header=BB1_90 Depth=1
	s_andn2_b32 vcc_lo, exec_lo, s4
	s_cbranch_vccnz .LBB1_452
; %bb.451:                              ;   in Loop: Header=BB1_90 Depth=1
	v_mov_b32_e32 v31, v40
	s_add_u32 s8, s36, 0x1000
	s_addc_u32 s9, s37, 0
	s_getpc_b64 s[16:17]
	s_add_u32 s16, s16, _Z50ncclDevFunc_Reduce_RING_SIMPLE_PreMulSum_f16_0_0_2v@rel32@lo+4
	s_addc_u32 s17, s17, _Z50ncclDevFunc_Reduce_RING_SIMPLE_PreMulSum_f16_0_0_2v@rel32@hi+12
	s_mov_b64 s[4:5], s[48:49]
	s_mov_b64 s[6:7], s[38:39]
	;; [unrolled: 1-line block ×3, first 2 shown]
	s_mov_b32 s12, s51
	s_mov_b32 s13, s50
	;; [unrolled: 1-line block ×3, first 2 shown]
	s_swappc_b64 s[30:31], s[16:17]
.LBB1_452:                              ;   in Loop: Header=BB1_90 Depth=1
	s_mov_b32 s4, 0
.LBB1_453:                              ;   in Loop: Header=BB1_90 Depth=1
	s_andn2_b32 vcc_lo, exec_lo, s4
	s_cbranch_vccnz .LBB1_455
; %bb.454:                              ;   in Loop: Header=BB1_90 Depth=1
	v_mov_b32_e32 v31, v40
	s_add_u32 s8, s36, 0x1000
	s_addc_u32 s9, s37, 0
	s_getpc_b64 s[16:17]
	s_add_u32 s16, s16, _Z50ncclDevFunc_Reduce_RING_SIMPLE_PreMulSum_u64_0_0_2v@rel32@lo+4
	s_addc_u32 s17, s17, _Z50ncclDevFunc_Reduce_RING_SIMPLE_PreMulSum_u64_0_0_2v@rel32@hi+12
	s_mov_b64 s[4:5], s[48:49]
	s_mov_b64 s[6:7], s[38:39]
	;; [unrolled: 1-line block ×3, first 2 shown]
	s_mov_b32 s12, s51
	s_mov_b32 s13, s50
	;; [unrolled: 1-line block ×3, first 2 shown]
	s_swappc_b64 s[30:31], s[16:17]
.LBB1_455:                              ;   in Loop: Header=BB1_90 Depth=1
	s_mov_b32 s4, 0
.LBB1_456:                              ;   in Loop: Header=BB1_90 Depth=1
	s_and_b32 vcc_lo, exec_lo, s4
	s_cbranch_vccz .LBB1_461
; %bb.457:                              ;   in Loop: Header=BB1_90 Depth=1
	s_cmp_eq_u32 s65, 34
	s_mov_b32 s4, -1
	s_cbranch_scc1 .LBB1_459
; %bb.458:                              ;   in Loop: Header=BB1_90 Depth=1
	v_mov_b32_e32 v31, v40
	s_add_u32 s8, s36, 0x1000
	s_addc_u32 s9, s37, 0
	s_getpc_b64 s[16:17]
	s_add_u32 s16, s16, _Z49ncclDevFunc_Reduce_RING_SIMPLE_PreMulSum_u8_0_0_2v@rel32@lo+4
	s_addc_u32 s17, s17, _Z49ncclDevFunc_Reduce_RING_SIMPLE_PreMulSum_u8_0_0_2v@rel32@hi+12
	s_mov_b64 s[4:5], s[48:49]
	s_mov_b64 s[6:7], s[38:39]
	;; [unrolled: 1-line block ×3, first 2 shown]
	s_mov_b32 s12, s51
	s_mov_b32 s13, s50
	;; [unrolled: 1-line block ×3, first 2 shown]
	s_swappc_b64 s[30:31], s[16:17]
	s_mov_b32 s4, 0
.LBB1_459:                              ;   in Loop: Header=BB1_90 Depth=1
	s_andn2_b32 vcc_lo, exec_lo, s4
	s_cbranch_vccnz .LBB1_461
; %bb.460:                              ;   in Loop: Header=BB1_90 Depth=1
	v_mov_b32_e32 v31, v40
	s_add_u32 s8, s36, 0x1000
	s_addc_u32 s9, s37, 0
	s_getpc_b64 s[16:17]
	s_add_u32 s16, s16, _Z50ncclDevFunc_Reduce_RING_SIMPLE_PreMulSum_u32_0_0_2v@rel32@lo+4
	s_addc_u32 s17, s17, _Z50ncclDevFunc_Reduce_RING_SIMPLE_PreMulSum_u32_0_0_2v@rel32@hi+12
	s_mov_b64 s[4:5], s[48:49]
	s_mov_b64 s[6:7], s[38:39]
	s_mov_b64 s[10:11], s[34:35]
	s_mov_b32 s12, s51
	s_mov_b32 s13, s50
	s_mov_b32 s14, s33
	s_swappc_b64 s[30:31], s[16:17]
.LBB1_461:                              ;   in Loop: Header=BB1_90 Depth=1
	s_mov_b32 s4, 0
.LBB1_462:                              ;   in Loop: Header=BB1_90 Depth=1
	s_andn2_b32 vcc_lo, exec_lo, s4
	s_cbranch_vccnz .LBB1_500
; %bb.463:                              ;   in Loop: Header=BB1_90 Depth=1
	s_cmp_gt_u32 s65, 26
	s_mov_b32 s4, -1
	s_cbranch_scc0 .LBB1_484
; %bb.464:                              ;   in Loop: Header=BB1_90 Depth=1
	s_cmp_gt_u32 s65, 29
	s_cbranch_scc0 .LBB1_474
; %bb.465:                              ;   in Loop: Header=BB1_90 Depth=1
	s_sext_i32_i16 s4, s64
	s_cmp_lt_i32 s4, 31
	s_mov_b32 s4, -1
	s_cbranch_scc1 .LBB1_471
; %bb.466:                              ;   in Loop: Header=BB1_90 Depth=1
	s_cmp_lg_u32 s65, 31
	s_cbranch_scc0 .LBB1_468
; %bb.467:                              ;   in Loop: Header=BB1_90 Depth=1
	v_mov_b32_e32 v31, v40
	s_add_u32 s8, s36, 0x1000
	s_addc_u32 s9, s37, 0
	s_getpc_b64 s[16:17]
	s_add_u32 s16, s16, _Z50ncclDevFunc_Reduce_RING_SIMPLE_MinMax_f8e5m2_0_0_2v@rel32@lo+4
	s_addc_u32 s17, s17, _Z50ncclDevFunc_Reduce_RING_SIMPLE_MinMax_f8e5m2_0_0_2v@rel32@hi+12
	s_mov_b64 s[4:5], s[48:49]
	s_mov_b64 s[6:7], s[38:39]
	;; [unrolled: 1-line block ×3, first 2 shown]
	s_mov_b32 s12, s51
	s_mov_b32 s13, s50
	;; [unrolled: 1-line block ×3, first 2 shown]
	s_swappc_b64 s[30:31], s[16:17]
	s_mov_b32 s4, 0
.LBB1_468:                              ;   in Loop: Header=BB1_90 Depth=1
	s_andn2_b32 vcc_lo, exec_lo, s4
	s_cbranch_vccnz .LBB1_470
; %bb.469:                              ;   in Loop: Header=BB1_90 Depth=1
	v_mov_b32_e32 v31, v40
	s_add_u32 s8, s36, 0x1000
	s_addc_u32 s9, s37, 0
	s_getpc_b64 s[16:17]
	s_add_u32 s16, s16, _Z50ncclDevFunc_Reduce_RING_SIMPLE_MinMax_f8e4m3_0_0_2v@rel32@lo+4
	s_addc_u32 s17, s17, _Z50ncclDevFunc_Reduce_RING_SIMPLE_MinMax_f8e4m3_0_0_2v@rel32@hi+12
	s_mov_b64 s[4:5], s[48:49]
	s_mov_b64 s[6:7], s[38:39]
	s_mov_b64 s[10:11], s[34:35]
	s_mov_b32 s12, s51
	s_mov_b32 s13, s50
	;; [unrolled: 1-line block ×3, first 2 shown]
	s_swappc_b64 s[30:31], s[16:17]
.LBB1_470:                              ;   in Loop: Header=BB1_90 Depth=1
	s_mov_b32 s4, 0
.LBB1_471:                              ;   in Loop: Header=BB1_90 Depth=1
	s_andn2_b32 vcc_lo, exec_lo, s4
	s_cbranch_vccnz .LBB1_473
; %bb.472:                              ;   in Loop: Header=BB1_90 Depth=1
	v_mov_b32_e32 v31, v40
	s_add_u32 s8, s36, 0x1000
	s_addc_u32 s9, s37, 0
	s_getpc_b64 s[16:17]
	s_add_u32 s16, s16, _Z48ncclDevFunc_Reduce_RING_SIMPLE_MinMax_bf16_0_1_2v@rel32@lo+4
	s_addc_u32 s17, s17, _Z48ncclDevFunc_Reduce_RING_SIMPLE_MinMax_bf16_0_1_2v@rel32@hi+12
	s_mov_b64 s[4:5], s[48:49]
	s_mov_b64 s[6:7], s[38:39]
	;; [unrolled: 1-line block ×3, first 2 shown]
	s_mov_b32 s12, s51
	s_mov_b32 s13, s50
	;; [unrolled: 1-line block ×3, first 2 shown]
	s_swappc_b64 s[30:31], s[16:17]
.LBB1_473:                              ;   in Loop: Header=BB1_90 Depth=1
	s_mov_b32 s4, 0
.LBB1_474:                              ;   in Loop: Header=BB1_90 Depth=1
	s_and_b32 vcc_lo, exec_lo, s4
	s_cbranch_vccz .LBB1_483
; %bb.475:                              ;   in Loop: Header=BB1_90 Depth=1
	s_sext_i32_i16 s4, s64
	s_cmp_lt_i32 s4, 28
	s_mov_b32 s4, -1
	s_cbranch_scc1 .LBB1_481
; %bb.476:                              ;   in Loop: Header=BB1_90 Depth=1
	s_cmp_lg_u32 s65, 28
	s_cbranch_scc0 .LBB1_478
; %bb.477:                              ;   in Loop: Header=BB1_90 Depth=1
	v_mov_b32_e32 v31, v40
	s_add_u32 s8, s36, 0x1000
	s_addc_u32 s9, s37, 0
	s_getpc_b64 s[16:17]
	s_add_u32 s16, s16, _Z48ncclDevFunc_Reduce_RING_SIMPLE_MinMax_bf16_0_0_2v@rel32@lo+4
	s_addc_u32 s17, s17, _Z48ncclDevFunc_Reduce_RING_SIMPLE_MinMax_bf16_0_0_2v@rel32@hi+12
	s_mov_b64 s[4:5], s[48:49]
	s_mov_b64 s[6:7], s[38:39]
	;; [unrolled: 1-line block ×3, first 2 shown]
	s_mov_b32 s12, s51
	s_mov_b32 s13, s50
	;; [unrolled: 1-line block ×3, first 2 shown]
	s_swappc_b64 s[30:31], s[16:17]
	s_mov_b32 s4, 0
.LBB1_478:                              ;   in Loop: Header=BB1_90 Depth=1
	s_andn2_b32 vcc_lo, exec_lo, s4
	s_cbranch_vccnz .LBB1_480
; %bb.479:                              ;   in Loop: Header=BB1_90 Depth=1
	v_mov_b32_e32 v31, v40
	s_add_u32 s8, s36, 0x1000
	s_addc_u32 s9, s37, 0
	s_getpc_b64 s[16:17]
	s_add_u32 s16, s16, _Z47ncclDevFunc_Reduce_RING_SIMPLE_MinMax_f64_0_0_2v@rel32@lo+4
	s_addc_u32 s17, s17, _Z47ncclDevFunc_Reduce_RING_SIMPLE_MinMax_f64_0_0_2v@rel32@hi+12
	s_mov_b64 s[4:5], s[48:49]
	s_mov_b64 s[6:7], s[38:39]
	;; [unrolled: 1-line block ×3, first 2 shown]
	s_mov_b32 s12, s51
	s_mov_b32 s13, s50
	;; [unrolled: 1-line block ×3, first 2 shown]
	s_swappc_b64 s[30:31], s[16:17]
.LBB1_480:                              ;   in Loop: Header=BB1_90 Depth=1
	s_mov_b32 s4, 0
.LBB1_481:                              ;   in Loop: Header=BB1_90 Depth=1
	s_andn2_b32 vcc_lo, exec_lo, s4
	s_cbranch_vccnz .LBB1_483
; %bb.482:                              ;   in Loop: Header=BB1_90 Depth=1
	v_mov_b32_e32 v31, v40
	s_add_u32 s8, s36, 0x1000
	s_addc_u32 s9, s37, 0
	s_getpc_b64 s[16:17]
	s_add_u32 s16, s16, _Z47ncclDevFunc_Reduce_RING_SIMPLE_MinMax_f32_0_0_2v@rel32@lo+4
	s_addc_u32 s17, s17, _Z47ncclDevFunc_Reduce_RING_SIMPLE_MinMax_f32_0_0_2v@rel32@hi+12
	s_mov_b64 s[4:5], s[48:49]
	s_mov_b64 s[6:7], s[38:39]
	;; [unrolled: 1-line block ×3, first 2 shown]
	s_mov_b32 s12, s51
	s_mov_b32 s13, s50
	;; [unrolled: 1-line block ×3, first 2 shown]
	s_swappc_b64 s[30:31], s[16:17]
.LBB1_483:                              ;   in Loop: Header=BB1_90 Depth=1
	s_mov_b32 s4, 0
.LBB1_484:                              ;   in Loop: Header=BB1_90 Depth=1
	s_andn2_b32 vcc_lo, exec_lo, s4
	s_cbranch_vccnz .LBB1_500
; %bb.485:                              ;   in Loop: Header=BB1_90 Depth=1
	s_cmp_gt_u32 s65, 23
	s_mov_b32 s4, -1
	s_cbranch_scc0 .LBB1_495
; %bb.486:                              ;   in Loop: Header=BB1_90 Depth=1
	s_sext_i32_i16 s4, s64
	s_cmp_lt_i32 s4, 25
	s_mov_b32 s4, -1
	s_cbranch_scc1 .LBB1_492
; %bb.487:                              ;   in Loop: Header=BB1_90 Depth=1
	s_cmp_lg_u32 s65, 25
	s_cbranch_scc0 .LBB1_489
; %bb.488:                              ;   in Loop: Header=BB1_90 Depth=1
	v_mov_b32_e32 v31, v40
	s_add_u32 s8, s36, 0x1000
	s_addc_u32 s9, s37, 0
	s_getpc_b64 s[16:17]
	s_add_u32 s16, s16, _Z47ncclDevFunc_Reduce_RING_SIMPLE_MinMax_f16_0_0_2v@rel32@lo+4
	s_addc_u32 s17, s17, _Z47ncclDevFunc_Reduce_RING_SIMPLE_MinMax_f16_0_0_2v@rel32@hi+12
	s_mov_b64 s[4:5], s[48:49]
	s_mov_b64 s[6:7], s[38:39]
	;; [unrolled: 1-line block ×3, first 2 shown]
	s_mov_b32 s12, s51
	s_mov_b32 s13, s50
	;; [unrolled: 1-line block ×3, first 2 shown]
	s_swappc_b64 s[30:31], s[16:17]
	s_mov_b32 s4, 0
.LBB1_489:                              ;   in Loop: Header=BB1_90 Depth=1
	s_andn2_b32 vcc_lo, exec_lo, s4
	s_cbranch_vccnz .LBB1_491
; %bb.490:                              ;   in Loop: Header=BB1_90 Depth=1
	v_mov_b32_e32 v31, v40
	s_add_u32 s8, s36, 0x1000
	s_addc_u32 s9, s37, 0
	s_getpc_b64 s[16:17]
	s_add_u32 s16, s16, _Z47ncclDevFunc_Reduce_RING_SIMPLE_MinMax_u64_0_0_2v@rel32@lo+4
	s_addc_u32 s17, s17, _Z47ncclDevFunc_Reduce_RING_SIMPLE_MinMax_u64_0_0_2v@rel32@hi+12
	s_mov_b64 s[4:5], s[48:49]
	s_mov_b64 s[6:7], s[38:39]
	;; [unrolled: 1-line block ×3, first 2 shown]
	s_mov_b32 s12, s51
	s_mov_b32 s13, s50
	;; [unrolled: 1-line block ×3, first 2 shown]
	s_swappc_b64 s[30:31], s[16:17]
.LBB1_491:                              ;   in Loop: Header=BB1_90 Depth=1
	s_mov_b32 s4, 0
.LBB1_492:                              ;   in Loop: Header=BB1_90 Depth=1
	s_andn2_b32 vcc_lo, exec_lo, s4
	s_cbranch_vccnz .LBB1_494
; %bb.493:                              ;   in Loop: Header=BB1_90 Depth=1
	v_mov_b32_e32 v31, v40
	s_add_u32 s8, s36, 0x1000
	s_addc_u32 s9, s37, 0
	s_getpc_b64 s[16:17]
	s_add_u32 s16, s16, _Z47ncclDevFunc_Reduce_RING_SIMPLE_MinMax_u32_0_0_2v@rel32@lo+4
	s_addc_u32 s17, s17, _Z47ncclDevFunc_Reduce_RING_SIMPLE_MinMax_u32_0_0_2v@rel32@hi+12
	s_mov_b64 s[4:5], s[48:49]
	s_mov_b64 s[6:7], s[38:39]
	s_mov_b64 s[10:11], s[34:35]
	s_mov_b32 s12, s51
	s_mov_b32 s13, s50
	;; [unrolled: 1-line block ×3, first 2 shown]
	s_swappc_b64 s[30:31], s[16:17]
.LBB1_494:                              ;   in Loop: Header=BB1_90 Depth=1
	s_mov_b32 s4, 0
.LBB1_495:                              ;   in Loop: Header=BB1_90 Depth=1
	s_and_b32 vcc_lo, exec_lo, s4
	s_cbranch_vccz .LBB1_500
; %bb.496:                              ;   in Loop: Header=BB1_90 Depth=1
	s_cmp_eq_u32 s65, 23
	s_mov_b32 s4, -1
	s_cbranch_scc1 .LBB1_498
; %bb.497:                              ;   in Loop: Header=BB1_90 Depth=1
	v_mov_b32_e32 v31, v40
	s_add_u32 s8, s36, 0x1000
	s_addc_u32 s9, s37, 0
	s_getpc_b64 s[16:17]
	s_add_u32 s16, s16, _Z48ncclDevFunc_Reduce_RING_SIMPLE_Prod_f8e5m2_0_0_2v@rel32@lo+4
	s_addc_u32 s17, s17, _Z48ncclDevFunc_Reduce_RING_SIMPLE_Prod_f8e5m2_0_0_2v@rel32@hi+12
	s_mov_b64 s[4:5], s[48:49]
	s_mov_b64 s[6:7], s[38:39]
	;; [unrolled: 1-line block ×3, first 2 shown]
	s_mov_b32 s12, s51
	s_mov_b32 s13, s50
	;; [unrolled: 1-line block ×3, first 2 shown]
	s_swappc_b64 s[30:31], s[16:17]
	s_mov_b32 s4, 0
.LBB1_498:                              ;   in Loop: Header=BB1_90 Depth=1
	s_andn2_b32 vcc_lo, exec_lo, s4
	s_cbranch_vccnz .LBB1_500
; %bb.499:                              ;   in Loop: Header=BB1_90 Depth=1
	v_mov_b32_e32 v31, v40
	s_add_u32 s8, s36, 0x1000
	s_addc_u32 s9, s37, 0
	s_getpc_b64 s[16:17]
	s_add_u32 s16, s16, _Z46ncclDevFunc_Reduce_RING_SIMPLE_MinMax_u8_0_0_2v@rel32@lo+4
	s_addc_u32 s17, s17, _Z46ncclDevFunc_Reduce_RING_SIMPLE_MinMax_u8_0_0_2v@rel32@hi+12
	s_mov_b64 s[4:5], s[48:49]
	s_mov_b64 s[6:7], s[38:39]
	;; [unrolled: 1-line block ×3, first 2 shown]
	s_mov_b32 s12, s51
	s_mov_b32 s13, s50
	;; [unrolled: 1-line block ×3, first 2 shown]
	s_swappc_b64 s[30:31], s[16:17]
.LBB1_500:                              ;   in Loop: Header=BB1_90 Depth=1
	s_mov_b32 s4, 0
.LBB1_501:                              ;   in Loop: Header=BB1_90 Depth=1
	s_andn2_b32 vcc_lo, exec_lo, s4
	s_cbranch_vccnz .LBB1_576
; %bb.502:                              ;   in Loop: Header=BB1_90 Depth=1
	s_cmp_gt_u32 s65, 10
	s_mov_b32 s4, -1
	s_cbranch_scc0 .LBB1_541
; %bb.503:                              ;   in Loop: Header=BB1_90 Depth=1
	s_cmp_gt_u32 s65, 15
	s_cbranch_scc0 .LBB1_524
; %bb.504:                              ;   in Loop: Header=BB1_90 Depth=1
	s_cmp_gt_u32 s65, 18
	s_cbranch_scc0 .LBB1_514
; %bb.505:                              ;   in Loop: Header=BB1_90 Depth=1
	s_sext_i32_i16 s4, s64
	s_cmp_lt_i32 s4, 20
	s_mov_b32 s4, -1
	s_cbranch_scc1 .LBB1_511
; %bb.506:                              ;   in Loop: Header=BB1_90 Depth=1
	s_cmp_lg_u32 s65, 20
	s_cbranch_scc0 .LBB1_508
; %bb.507:                              ;   in Loop: Header=BB1_90 Depth=1
	v_mov_b32_e32 v31, v40
	s_add_u32 s8, s36, 0x1000
	s_addc_u32 s9, s37, 0
	s_getpc_b64 s[16:17]
	s_add_u32 s16, s16, _Z48ncclDevFunc_Reduce_RING_SIMPLE_Prod_f8e4m3_0_0_2v@rel32@lo+4
	s_addc_u32 s17, s17, _Z48ncclDevFunc_Reduce_RING_SIMPLE_Prod_f8e4m3_0_0_2v@rel32@hi+12
	s_mov_b64 s[4:5], s[48:49]
	s_mov_b64 s[6:7], s[38:39]
	s_mov_b64 s[10:11], s[34:35]
	s_mov_b32 s12, s51
	s_mov_b32 s13, s50
	;; [unrolled: 1-line block ×3, first 2 shown]
	s_swappc_b64 s[30:31], s[16:17]
	s_mov_b32 s4, 0
.LBB1_508:                              ;   in Loop: Header=BB1_90 Depth=1
	s_andn2_b32 vcc_lo, exec_lo, s4
	s_cbranch_vccnz .LBB1_510
; %bb.509:                              ;   in Loop: Header=BB1_90 Depth=1
	v_mov_b32_e32 v31, v40
	s_add_u32 s8, s36, 0x1000
	s_addc_u32 s9, s37, 0
	s_getpc_b64 s[16:17]
	s_add_u32 s16, s16, _Z46ncclDevFunc_Reduce_RING_SIMPLE_Prod_bf16_0_1_2v@rel32@lo+4
	s_addc_u32 s17, s17, _Z46ncclDevFunc_Reduce_RING_SIMPLE_Prod_bf16_0_1_2v@rel32@hi+12
	s_mov_b64 s[4:5], s[48:49]
	s_mov_b64 s[6:7], s[38:39]
	;; [unrolled: 1-line block ×3, first 2 shown]
	s_mov_b32 s12, s51
	s_mov_b32 s13, s50
	;; [unrolled: 1-line block ×3, first 2 shown]
	s_swappc_b64 s[30:31], s[16:17]
.LBB1_510:                              ;   in Loop: Header=BB1_90 Depth=1
	s_mov_b32 s4, 0
.LBB1_511:                              ;   in Loop: Header=BB1_90 Depth=1
	s_andn2_b32 vcc_lo, exec_lo, s4
	s_cbranch_vccnz .LBB1_513
; %bb.512:                              ;   in Loop: Header=BB1_90 Depth=1
	v_mov_b32_e32 v31, v40
	s_add_u32 s8, s36, 0x1000
	s_addc_u32 s9, s37, 0
	s_getpc_b64 s[16:17]
	s_add_u32 s16, s16, _Z46ncclDevFunc_Reduce_RING_SIMPLE_Prod_bf16_0_0_2v@rel32@lo+4
	s_addc_u32 s17, s17, _Z46ncclDevFunc_Reduce_RING_SIMPLE_Prod_bf16_0_0_2v@rel32@hi+12
	s_mov_b64 s[4:5], s[48:49]
	s_mov_b64 s[6:7], s[38:39]
	;; [unrolled: 1-line block ×3, first 2 shown]
	s_mov_b32 s12, s51
	s_mov_b32 s13, s50
	;; [unrolled: 1-line block ×3, first 2 shown]
	s_swappc_b64 s[30:31], s[16:17]
.LBB1_513:                              ;   in Loop: Header=BB1_90 Depth=1
	s_mov_b32 s4, 0
.LBB1_514:                              ;   in Loop: Header=BB1_90 Depth=1
	s_and_b32 vcc_lo, exec_lo, s4
	s_cbranch_vccz .LBB1_523
; %bb.515:                              ;   in Loop: Header=BB1_90 Depth=1
	s_sext_i32_i16 s4, s64
	s_cmp_lt_i32 s4, 17
	s_mov_b32 s4, -1
	s_cbranch_scc1 .LBB1_521
; %bb.516:                              ;   in Loop: Header=BB1_90 Depth=1
	s_cmp_lg_u32 s65, 17
	s_cbranch_scc0 .LBB1_518
; %bb.517:                              ;   in Loop: Header=BB1_90 Depth=1
	v_mov_b32_e32 v31, v40
	s_add_u32 s8, s36, 0x1000
	s_addc_u32 s9, s37, 0
	s_getpc_b64 s[16:17]
	s_add_u32 s16, s16, _Z45ncclDevFunc_Reduce_RING_SIMPLE_Prod_f64_0_0_2v@rel32@lo+4
	s_addc_u32 s17, s17, _Z45ncclDevFunc_Reduce_RING_SIMPLE_Prod_f64_0_0_2v@rel32@hi+12
	s_mov_b64 s[4:5], s[48:49]
	s_mov_b64 s[6:7], s[38:39]
	;; [unrolled: 1-line block ×3, first 2 shown]
	s_mov_b32 s12, s51
	s_mov_b32 s13, s50
	;; [unrolled: 1-line block ×3, first 2 shown]
	s_swappc_b64 s[30:31], s[16:17]
	s_mov_b32 s4, 0
.LBB1_518:                              ;   in Loop: Header=BB1_90 Depth=1
	s_andn2_b32 vcc_lo, exec_lo, s4
	s_cbranch_vccnz .LBB1_520
; %bb.519:                              ;   in Loop: Header=BB1_90 Depth=1
	v_mov_b32_e32 v31, v40
	s_add_u32 s8, s36, 0x1000
	s_addc_u32 s9, s37, 0
	s_getpc_b64 s[16:17]
	s_add_u32 s16, s16, _Z45ncclDevFunc_Reduce_RING_SIMPLE_Prod_f32_0_0_2v@rel32@lo+4
	s_addc_u32 s17, s17, _Z45ncclDevFunc_Reduce_RING_SIMPLE_Prod_f32_0_0_2v@rel32@hi+12
	s_mov_b64 s[4:5], s[48:49]
	s_mov_b64 s[6:7], s[38:39]
	;; [unrolled: 1-line block ×3, first 2 shown]
	s_mov_b32 s12, s51
	s_mov_b32 s13, s50
	;; [unrolled: 1-line block ×3, first 2 shown]
	s_swappc_b64 s[30:31], s[16:17]
.LBB1_520:                              ;   in Loop: Header=BB1_90 Depth=1
	s_mov_b32 s4, 0
.LBB1_521:                              ;   in Loop: Header=BB1_90 Depth=1
	s_andn2_b32 vcc_lo, exec_lo, s4
	s_cbranch_vccnz .LBB1_523
; %bb.522:                              ;   in Loop: Header=BB1_90 Depth=1
	v_mov_b32_e32 v31, v40
	s_add_u32 s8, s36, 0x1000
	s_addc_u32 s9, s37, 0
	s_getpc_b64 s[16:17]
	s_add_u32 s16, s16, _Z45ncclDevFunc_Reduce_RING_SIMPLE_Prod_f16_0_0_2v@rel32@lo+4
	s_addc_u32 s17, s17, _Z45ncclDevFunc_Reduce_RING_SIMPLE_Prod_f16_0_0_2v@rel32@hi+12
	s_mov_b64 s[4:5], s[48:49]
	s_mov_b64 s[6:7], s[38:39]
	;; [unrolled: 1-line block ×3, first 2 shown]
	s_mov_b32 s12, s51
	s_mov_b32 s13, s50
	;; [unrolled: 1-line block ×3, first 2 shown]
	s_swappc_b64 s[30:31], s[16:17]
.LBB1_523:                              ;   in Loop: Header=BB1_90 Depth=1
	s_mov_b32 s4, 0
.LBB1_524:                              ;   in Loop: Header=BB1_90 Depth=1
	s_andn2_b32 vcc_lo, exec_lo, s4
	s_cbranch_vccnz .LBB1_540
; %bb.525:                              ;   in Loop: Header=BB1_90 Depth=1
	s_cmp_gt_u32 s65, 12
	s_mov_b32 s4, -1
	s_cbranch_scc0 .LBB1_535
; %bb.526:                              ;   in Loop: Header=BB1_90 Depth=1
	s_sext_i32_i16 s4, s64
	s_cmp_lt_i32 s4, 14
	s_mov_b32 s4, -1
	s_cbranch_scc1 .LBB1_532
; %bb.527:                              ;   in Loop: Header=BB1_90 Depth=1
	s_cmp_lg_u32 s65, 14
	s_cbranch_scc0 .LBB1_529
; %bb.528:                              ;   in Loop: Header=BB1_90 Depth=1
	v_mov_b32_e32 v31, v40
	s_add_u32 s8, s36, 0x1000
	s_addc_u32 s9, s37, 0
	s_getpc_b64 s[16:17]
	s_add_u32 s16, s16, _Z45ncclDevFunc_Reduce_RING_SIMPLE_Prod_u64_0_0_2v@rel32@lo+4
	s_addc_u32 s17, s17, _Z45ncclDevFunc_Reduce_RING_SIMPLE_Prod_u64_0_0_2v@rel32@hi+12
	s_mov_b64 s[4:5], s[48:49]
	s_mov_b64 s[6:7], s[38:39]
	;; [unrolled: 1-line block ×3, first 2 shown]
	s_mov_b32 s12, s51
	s_mov_b32 s13, s50
	s_mov_b32 s14, s33
	s_swappc_b64 s[30:31], s[16:17]
	s_mov_b32 s4, 0
.LBB1_529:                              ;   in Loop: Header=BB1_90 Depth=1
	s_andn2_b32 vcc_lo, exec_lo, s4
	s_cbranch_vccnz .LBB1_531
; %bb.530:                              ;   in Loop: Header=BB1_90 Depth=1
	v_mov_b32_e32 v31, v40
	s_add_u32 s8, s36, 0x1000
	s_addc_u32 s9, s37, 0
	s_getpc_b64 s[16:17]
	s_add_u32 s16, s16, _Z45ncclDevFunc_Reduce_RING_SIMPLE_Prod_u32_0_0_2v@rel32@lo+4
	s_addc_u32 s17, s17, _Z45ncclDevFunc_Reduce_RING_SIMPLE_Prod_u32_0_0_2v@rel32@hi+12
	s_mov_b64 s[4:5], s[48:49]
	s_mov_b64 s[6:7], s[38:39]
	;; [unrolled: 1-line block ×3, first 2 shown]
	s_mov_b32 s12, s51
	s_mov_b32 s13, s50
	;; [unrolled: 1-line block ×3, first 2 shown]
	s_swappc_b64 s[30:31], s[16:17]
.LBB1_531:                              ;   in Loop: Header=BB1_90 Depth=1
	s_mov_b32 s4, 0
.LBB1_532:                              ;   in Loop: Header=BB1_90 Depth=1
	s_andn2_b32 vcc_lo, exec_lo, s4
	s_cbranch_vccnz .LBB1_534
; %bb.533:                              ;   in Loop: Header=BB1_90 Depth=1
	v_mov_b32_e32 v31, v40
	s_add_u32 s8, s36, 0x1000
	s_addc_u32 s9, s37, 0
	s_getpc_b64 s[16:17]
	s_add_u32 s16, s16, _Z44ncclDevFunc_Reduce_RING_SIMPLE_Prod_u8_0_0_2v@rel32@lo+4
	s_addc_u32 s17, s17, _Z44ncclDevFunc_Reduce_RING_SIMPLE_Prod_u8_0_0_2v@rel32@hi+12
	s_mov_b64 s[4:5], s[48:49]
	s_mov_b64 s[6:7], s[38:39]
	;; [unrolled: 1-line block ×3, first 2 shown]
	s_mov_b32 s12, s51
	s_mov_b32 s13, s50
	;; [unrolled: 1-line block ×3, first 2 shown]
	s_swappc_b64 s[30:31], s[16:17]
.LBB1_534:                              ;   in Loop: Header=BB1_90 Depth=1
	s_mov_b32 s4, 0
.LBB1_535:                              ;   in Loop: Header=BB1_90 Depth=1
	s_and_b32 vcc_lo, exec_lo, s4
	s_cbranch_vccz .LBB1_540
; %bb.536:                              ;   in Loop: Header=BB1_90 Depth=1
	s_cmp_eq_u32 s65, 12
	s_mov_b32 s4, -1
	s_cbranch_scc1 .LBB1_538
; %bb.537:                              ;   in Loop: Header=BB1_90 Depth=1
	v_mov_b32_e32 v31, v40
	s_add_u32 s8, s36, 0x1000
	s_addc_u32 s9, s37, 0
	s_getpc_b64 s[16:17]
	s_add_u32 s16, s16, _Z47ncclDevFunc_Reduce_RING_SIMPLE_Sum_f8e4m3_0_0_2v@rel32@lo+4
	s_addc_u32 s17, s17, _Z47ncclDevFunc_Reduce_RING_SIMPLE_Sum_f8e4m3_0_0_2v@rel32@hi+12
	s_mov_b64 s[4:5], s[48:49]
	s_mov_b64 s[6:7], s[38:39]
	;; [unrolled: 1-line block ×3, first 2 shown]
	s_mov_b32 s12, s51
	s_mov_b32 s13, s50
	;; [unrolled: 1-line block ×3, first 2 shown]
	s_swappc_b64 s[30:31], s[16:17]
	s_mov_b32 s4, 0
.LBB1_538:                              ;   in Loop: Header=BB1_90 Depth=1
	s_andn2_b32 vcc_lo, exec_lo, s4
	s_cbranch_vccnz .LBB1_540
; %bb.539:                              ;   in Loop: Header=BB1_90 Depth=1
	v_mov_b32_e32 v31, v40
	s_add_u32 s8, s36, 0x1000
	s_addc_u32 s9, s37, 0
	s_getpc_b64 s[16:17]
	s_add_u32 s16, s16, _Z47ncclDevFunc_Reduce_RING_SIMPLE_Sum_f8e5m2_0_0_2v@rel32@lo+4
	s_addc_u32 s17, s17, _Z47ncclDevFunc_Reduce_RING_SIMPLE_Sum_f8e5m2_0_0_2v@rel32@hi+12
	s_mov_b64 s[4:5], s[48:49]
	s_mov_b64 s[6:7], s[38:39]
	;; [unrolled: 1-line block ×3, first 2 shown]
	s_mov_b32 s12, s51
	s_mov_b32 s13, s50
	;; [unrolled: 1-line block ×3, first 2 shown]
	s_swappc_b64 s[30:31], s[16:17]
.LBB1_540:                              ;   in Loop: Header=BB1_90 Depth=1
	s_mov_b32 s4, 0
.LBB1_541:                              ;   in Loop: Header=BB1_90 Depth=1
	s_andn2_b32 vcc_lo, exec_lo, s4
	s_cbranch_vccnz .LBB1_576
; %bb.542:                              ;   in Loop: Header=BB1_90 Depth=1
	s_cmp_gt_u32 s65, 4
	s_mov_b32 s4, -1
	s_cbranch_scc0 .LBB1_563
; %bb.543:                              ;   in Loop: Header=BB1_90 Depth=1
	s_cmp_gt_u32 s65, 7
	s_cbranch_scc0 .LBB1_553
; %bb.544:                              ;   in Loop: Header=BB1_90 Depth=1
	s_sext_i32_i16 s4, s64
	s_cmp_lt_i32 s4, 9
	s_mov_b32 s4, -1
	s_cbranch_scc1 .LBB1_550
; %bb.545:                              ;   in Loop: Header=BB1_90 Depth=1
	s_cmp_lg_u32 s65, 9
	s_cbranch_scc0 .LBB1_547
; %bb.546:                              ;   in Loop: Header=BB1_90 Depth=1
	v_mov_b32_e32 v31, v40
	s_add_u32 s8, s36, 0x1000
	s_addc_u32 s9, s37, 0
	s_getpc_b64 s[16:17]
	s_add_u32 s16, s16, _Z45ncclDevFunc_Reduce_RING_SIMPLE_Sum_bf16_0_1_2v@rel32@lo+4
	s_addc_u32 s17, s17, _Z45ncclDevFunc_Reduce_RING_SIMPLE_Sum_bf16_0_1_2v@rel32@hi+12
	s_mov_b64 s[4:5], s[48:49]
	s_mov_b64 s[6:7], s[38:39]
	;; [unrolled: 1-line block ×3, first 2 shown]
	s_mov_b32 s12, s51
	s_mov_b32 s13, s50
	;; [unrolled: 1-line block ×3, first 2 shown]
	s_swappc_b64 s[30:31], s[16:17]
	s_mov_b32 s4, 0
.LBB1_547:                              ;   in Loop: Header=BB1_90 Depth=1
	s_andn2_b32 vcc_lo, exec_lo, s4
	s_cbranch_vccnz .LBB1_549
; %bb.548:                              ;   in Loop: Header=BB1_90 Depth=1
	v_mov_b32_e32 v31, v40
	s_add_u32 s8, s36, 0x1000
	s_addc_u32 s9, s37, 0
	s_getpc_b64 s[16:17]
	s_add_u32 s16, s16, _Z45ncclDevFunc_Reduce_RING_SIMPLE_Sum_bf16_0_0_2v@rel32@lo+4
	s_addc_u32 s17, s17, _Z45ncclDevFunc_Reduce_RING_SIMPLE_Sum_bf16_0_0_2v@rel32@hi+12
	s_mov_b64 s[4:5], s[48:49]
	s_mov_b64 s[6:7], s[38:39]
	;; [unrolled: 1-line block ×3, first 2 shown]
	s_mov_b32 s12, s51
	s_mov_b32 s13, s50
	;; [unrolled: 1-line block ×3, first 2 shown]
	s_swappc_b64 s[30:31], s[16:17]
.LBB1_549:                              ;   in Loop: Header=BB1_90 Depth=1
	s_mov_b32 s4, 0
.LBB1_550:                              ;   in Loop: Header=BB1_90 Depth=1
	s_andn2_b32 vcc_lo, exec_lo, s4
	s_cbranch_vccnz .LBB1_552
; %bb.551:                              ;   in Loop: Header=BB1_90 Depth=1
	v_mov_b32_e32 v31, v40
	s_add_u32 s8, s36, 0x1000
	s_addc_u32 s9, s37, 0
	s_getpc_b64 s[16:17]
	s_add_u32 s16, s16, _Z44ncclDevFunc_Reduce_RING_SIMPLE_Sum_f64_0_0_2v@rel32@lo+4
	s_addc_u32 s17, s17, _Z44ncclDevFunc_Reduce_RING_SIMPLE_Sum_f64_0_0_2v@rel32@hi+12
	s_mov_b64 s[4:5], s[48:49]
	s_mov_b64 s[6:7], s[38:39]
	;; [unrolled: 1-line block ×3, first 2 shown]
	s_mov_b32 s12, s51
	s_mov_b32 s13, s50
	;; [unrolled: 1-line block ×3, first 2 shown]
	s_swappc_b64 s[30:31], s[16:17]
.LBB1_552:                              ;   in Loop: Header=BB1_90 Depth=1
	s_mov_b32 s4, 0
.LBB1_553:                              ;   in Loop: Header=BB1_90 Depth=1
	s_and_b32 vcc_lo, exec_lo, s4
	s_cbranch_vccz .LBB1_562
; %bb.554:                              ;   in Loop: Header=BB1_90 Depth=1
	s_sext_i32_i16 s4, s64
	s_cmp_lt_i32 s4, 6
	s_mov_b32 s4, -1
	s_cbranch_scc1 .LBB1_560
; %bb.555:                              ;   in Loop: Header=BB1_90 Depth=1
	s_cmp_lg_u32 s65, 6
	s_cbranch_scc0 .LBB1_557
; %bb.556:                              ;   in Loop: Header=BB1_90 Depth=1
	v_mov_b32_e32 v31, v40
	s_add_u32 s8, s36, 0x1000
	s_addc_u32 s9, s37, 0
	s_getpc_b64 s[16:17]
	s_add_u32 s16, s16, _Z44ncclDevFunc_Reduce_RING_SIMPLE_Sum_f32_0_0_2v@rel32@lo+4
	s_addc_u32 s17, s17, _Z44ncclDevFunc_Reduce_RING_SIMPLE_Sum_f32_0_0_2v@rel32@hi+12
	s_mov_b64 s[4:5], s[48:49]
	s_mov_b64 s[6:7], s[38:39]
	;; [unrolled: 1-line block ×3, first 2 shown]
	s_mov_b32 s12, s51
	s_mov_b32 s13, s50
	;; [unrolled: 1-line block ×3, first 2 shown]
	s_swappc_b64 s[30:31], s[16:17]
	s_mov_b32 s4, 0
.LBB1_557:                              ;   in Loop: Header=BB1_90 Depth=1
	s_andn2_b32 vcc_lo, exec_lo, s4
	s_cbranch_vccnz .LBB1_559
; %bb.558:                              ;   in Loop: Header=BB1_90 Depth=1
	v_mov_b32_e32 v31, v40
	s_add_u32 s8, s36, 0x1000
	s_addc_u32 s9, s37, 0
	s_getpc_b64 s[16:17]
	s_add_u32 s16, s16, _Z44ncclDevFunc_Reduce_RING_SIMPLE_Sum_f16_0_0_2v@rel32@lo+4
	s_addc_u32 s17, s17, _Z44ncclDevFunc_Reduce_RING_SIMPLE_Sum_f16_0_0_2v@rel32@hi+12
	s_mov_b64 s[4:5], s[48:49]
	s_mov_b64 s[6:7], s[38:39]
	;; [unrolled: 1-line block ×3, first 2 shown]
	s_mov_b32 s12, s51
	s_mov_b32 s13, s50
	;; [unrolled: 1-line block ×3, first 2 shown]
	s_swappc_b64 s[30:31], s[16:17]
.LBB1_559:                              ;   in Loop: Header=BB1_90 Depth=1
	s_mov_b32 s4, 0
.LBB1_560:                              ;   in Loop: Header=BB1_90 Depth=1
	s_andn2_b32 vcc_lo, exec_lo, s4
	s_cbranch_vccnz .LBB1_562
; %bb.561:                              ;   in Loop: Header=BB1_90 Depth=1
	v_mov_b32_e32 v31, v40
	s_add_u32 s8, s36, 0x1000
	s_addc_u32 s9, s37, 0
	s_getpc_b64 s[16:17]
	s_add_u32 s16, s16, _Z44ncclDevFunc_Reduce_RING_SIMPLE_Sum_u64_0_0_2v@rel32@lo+4
	s_addc_u32 s17, s17, _Z44ncclDevFunc_Reduce_RING_SIMPLE_Sum_u64_0_0_2v@rel32@hi+12
	s_mov_b64 s[4:5], s[48:49]
	s_mov_b64 s[6:7], s[38:39]
	;; [unrolled: 1-line block ×3, first 2 shown]
	s_mov_b32 s12, s51
	s_mov_b32 s13, s50
	;; [unrolled: 1-line block ×3, first 2 shown]
	s_swappc_b64 s[30:31], s[16:17]
.LBB1_562:                              ;   in Loop: Header=BB1_90 Depth=1
	s_mov_b32 s4, 0
.LBB1_563:                              ;   in Loop: Header=BB1_90 Depth=1
	s_andn2_b32 vcc_lo, exec_lo, s4
	s_cbranch_vccnz .LBB1_576
; %bb.564:                              ;   in Loop: Header=BB1_90 Depth=1
	s_cmp_gt_u32 s65, 1
	s_mov_b32 s4, -1
	s_cbranch_scc0 .LBB1_574
; %bb.565:                              ;   in Loop: Header=BB1_90 Depth=1
	s_sext_i32_i16 s4, s64
	s_cmp_lt_i32 s4, 3
	s_mov_b32 s4, -1
	s_cbranch_scc1 .LBB1_571
; %bb.566:                              ;   in Loop: Header=BB1_90 Depth=1
	s_cmp_lg_u32 s65, 3
	s_cbranch_scc0 .LBB1_568
; %bb.567:                              ;   in Loop: Header=BB1_90 Depth=1
	v_mov_b32_e32 v31, v40
	s_add_u32 s8, s36, 0x1000
	s_addc_u32 s9, s37, 0
	s_getpc_b64 s[16:17]
	s_add_u32 s16, s16, _Z44ncclDevFunc_Reduce_RING_SIMPLE_Sum_u32_0_0_2v@rel32@lo+4
	s_addc_u32 s17, s17, _Z44ncclDevFunc_Reduce_RING_SIMPLE_Sum_u32_0_0_2v@rel32@hi+12
	s_mov_b64 s[4:5], s[48:49]
	s_mov_b64 s[6:7], s[38:39]
	;; [unrolled: 1-line block ×3, first 2 shown]
	s_mov_b32 s12, s51
	s_mov_b32 s13, s50
	;; [unrolled: 1-line block ×3, first 2 shown]
	s_swappc_b64 s[30:31], s[16:17]
	s_mov_b32 s4, 0
.LBB1_568:                              ;   in Loop: Header=BB1_90 Depth=1
	s_andn2_b32 vcc_lo, exec_lo, s4
	s_cbranch_vccnz .LBB1_570
; %bb.569:                              ;   in Loop: Header=BB1_90 Depth=1
	v_mov_b32_e32 v31, v40
	s_add_u32 s8, s36, 0x1000
	s_addc_u32 s9, s37, 0
	s_getpc_b64 s[16:17]
	s_add_u32 s16, s16, _Z43ncclDevFunc_Reduce_RING_SIMPLE_Sum_u8_0_0_2v@rel32@lo+4
	s_addc_u32 s17, s17, _Z43ncclDevFunc_Reduce_RING_SIMPLE_Sum_u8_0_0_2v@rel32@hi+12
	s_mov_b64 s[4:5], s[48:49]
	s_mov_b64 s[6:7], s[38:39]
	;; [unrolled: 1-line block ×3, first 2 shown]
	s_mov_b32 s12, s51
	s_mov_b32 s13, s50
	s_mov_b32 s14, s33
	s_swappc_b64 s[30:31], s[16:17]
.LBB1_570:                              ;   in Loop: Header=BB1_90 Depth=1
	s_mov_b32 s4, 0
.LBB1_571:                              ;   in Loop: Header=BB1_90 Depth=1
	s_andn2_b32 vcc_lo, exec_lo, s4
	s_cbranch_vccnz .LBB1_573
; %bb.572:                              ;   in Loop: Header=BB1_90 Depth=1
	v_mov_b32_e32 v31, v40
	s_add_u32 s8, s36, 0x1000
	s_addc_u32 s9, s37, 0
	s_getpc_b64 s[16:17]
	s_add_u32 s16, s16, _Z46ncclDevFunc_Broadcast_RING_SIMPLE_Sum_i8_0_0_2v@rel32@lo+4
	s_addc_u32 s17, s17, _Z46ncclDevFunc_Broadcast_RING_SIMPLE_Sum_i8_0_0_2v@rel32@hi+12
	s_mov_b64 s[4:5], s[48:49]
	s_mov_b64 s[6:7], s[38:39]
	;; [unrolled: 1-line block ×3, first 2 shown]
	s_mov_b32 s12, s51
	s_mov_b32 s13, s50
	;; [unrolled: 1-line block ×3, first 2 shown]
	s_swappc_b64 s[30:31], s[16:17]
.LBB1_573:                              ;   in Loop: Header=BB1_90 Depth=1
	s_mov_b32 s4, 0
.LBB1_574:                              ;   in Loop: Header=BB1_90 Depth=1
	s_and_b32 vcc_lo, exec_lo, s4
	s_cbranch_vccz .LBB1_576
; %bb.575:                              ;   in Loop: Header=BB1_90 Depth=1
	v_mov_b32_e32 v31, v40
	s_add_u32 s8, s36, 0x1000
	s_addc_u32 s9, s37, 0
	s_getpc_b64 s[16:17]
	s_add_u32 s16, s16, _Z42ncclDevFunc_Broadcast_RING_LL_Sum_i8_0_0_2v@rel32@lo+4
	s_addc_u32 s17, s17, _Z42ncclDevFunc_Broadcast_RING_LL_Sum_i8_0_0_2v@rel32@hi+12
	s_mov_b64 s[4:5], s[48:49]
	s_mov_b64 s[6:7], s[38:39]
	;; [unrolled: 1-line block ×3, first 2 shown]
	s_mov_b32 s12, s51
	s_mov_b32 s13, s50
	s_mov_b32 s14, s33
	s_swappc_b64 s[30:31], s[16:17]
.LBB1_576:                              ;   in Loop: Header=BB1_90 Depth=1
	ds_read_b32 v0, v41 offset:17060
	s_waitcnt lgkmcnt(0)
	v_cmp_eq_u32_e32 vcc_lo, -1, v0
	v_readfirstlane_b32 s6, v0
	s_cbranch_vccnz .LBB1_591
; %bb.577:                              ;   in Loop: Header=BB1_90 Depth=1
	s_waitcnt_vscnt null, 0x0
	s_barrier
	buffer_gl0_inv
	s_and_saveexec_b32 s4, s55
	s_cbranch_execz .LBB1_581
; %bb.578:                              ;   in Loop: Header=BB1_90 Depth=1
	s_and_saveexec_b32 s5, s53
; %bb.579:                              ;   in Loop: Header=BB1_90 Depth=1
	v_mov_b32_e32 v42, v41
	ds_write_b64 v41, v[41:42] offset:21208
; %bb.580:                              ;   in Loop: Header=BB1_90 Depth=1
	s_or_b32 exec_lo, exec_lo, s5
	v_mov_b32_e32 v42, v41
	ds_write_b64 v43, v[41:42]
.LBB1_581:                              ;   in Loop: Header=BB1_90 Depth=1
	s_or_b32 exec_lo, exec_lo, s4
	s_and_saveexec_b32 s4, s52
	s_cbranch_execz .LBB1_593
; %bb.582:                              ;   in Loop: Header=BB1_90 Depth=1
	ds_read_b32 v6, v41 offset:17068
	ds_read_b64 v[2:3], v41 offset:17040
	s_waitcnt lgkmcnt(1)
	v_ashrrev_i32_e32 v5, 31, v6
	s_waitcnt lgkmcnt(0)
	v_add_co_u32 v0, vcc_lo, v2, 1
	v_add_co_ci_u32_e64 v1, null, 0, v3, vcc_lo
	v_add_co_u32 v4, vcc_lo, v2, v6
	v_add_co_ci_u32_e64 v5, null, v3, v5, vcc_lo
	v_cmp_gt_u64_e32 vcc_lo, v[0:1], v[4:5]
	s_cbranch_vccnz .LBB1_592
; %bb.583:                              ;   in Loop: Header=BB1_90 Depth=1
	ds_read_u8 v7, v41 offset:17064
	s_movk_i32 s5, 0x4f0e
	s_movk_i32 s7, 0x4eda
	s_branch .LBB1_585
.LBB1_584:                              ;   in Loop: Header=BB1_585 Depth=2
	s_waitcnt lgkmcnt(0)
	v_ashrrev_i32_e32 v5, 31, v6
	v_add_co_u32 v0, vcc_lo, v0, 1
	v_add_co_ci_u32_e64 v1, null, 0, v1, vcc_lo
	v_add_co_u32 v4, vcc_lo, v2, v6
	v_add_co_ci_u32_e64 v5, null, v3, v5, vcc_lo
	s_add_i32 s5, s5, 64
	s_addk_i32 s7, 0x80
	v_cmp_le_u64_e32 vcc_lo, v[0:1], v[4:5]
	s_cbranch_vccz .LBB1_592
.LBB1_585:                              ;   Parent Loop BB1_90 Depth=1
                                        ; =>  This Inner Loop Header: Depth=2
	s_waitcnt lgkmcnt(0)
	v_cmp_ne_u32_sdwa s8, v7, v41 src0_sel:BYTE_0 src1_sel:DWORD
	s_and_b32 vcc_lo, exec_lo, s8
	s_cbranch_vccz .LBB1_590
; %bb.586:                              ;   in Loop: Header=BB1_585 Depth=2
	v_mov_b32_e32 v4, s7
	ds_read_u8 v4, v4
	s_waitcnt lgkmcnt(0)
	v_and_b32_e32 v4, 1, v4
	s_cbranch_execnz .LBB1_588
.LBB1_587:                              ;   in Loop: Header=BB1_585 Depth=2
	v_mov_b32_e32 v4, s5
	ds_read_u16 v4, v4
	s_waitcnt lgkmcnt(0)
	v_bfe_u32 v4, v4, 6, 1
.LBB1_588:                              ;   in Loop: Header=BB1_585 Depth=2
	v_cmp_eq_u32_e32 vcc_lo, 0, v4
	s_cbranch_vccnz .LBB1_584
; %bb.589:                              ;   in Loop: Header=BB1_585 Depth=2
	s_memrealtime s[8:9]
	ds_read_u8 v7, v41 offset:17064
	ds_read_b32 v2, v41 offset:16560
	ds_read_b64 v[4:5], v41 offset:16664
	v_and_b32_e32 v6, 63, v0
	v_lshlrev_b32_e32 v6, 4, v6
	s_waitcnt lgkmcnt(0)
	v_ashrrev_i32_e32 v3, 31, v2
	v_lshlrev_b64 v[8:9], 10, v[2:3]
	v_mov_b32_e32 v2, s8
	v_mov_b32_e32 v3, s9
	v_add_co_u32 v4, vcc_lo, v4, v8
	v_add_co_ci_u32_e64 v5, null, v5, v9, vcc_lo
	v_add_co_u32 v4, vcc_lo, v4, v6
	v_add_co_ci_u32_e64 v5, null, 0, v5, vcc_lo
	flat_store_dwordx4 v[4:5], v[0:3]
	ds_read_b64 v[2:3], v41 offset:17040
	ds_read_b32 v6, v41 offset:17068
	s_branch .LBB1_584
.LBB1_590:                              ;   in Loop: Header=BB1_585 Depth=2
                                        ; implicit-def: $vgpr4
	s_branch .LBB1_587
.LBB1_591:                              ;   in Loop: Header=BB1_90 Depth=1
	s_cbranch_execz .LBB1_90
	s_branch .LBB1_76
.LBB1_592:                              ;   in Loop: Header=BB1_90 Depth=1
	ds_write_b64 v41, v[4:5] offset:17040
.LBB1_593:                              ;   in Loop: Header=BB1_90 Depth=1
	s_or_b32 exec_lo, exec_lo, s4
	v_mov_b32_e32 v9, v44
	s_mov_b32 s12, 0
                                        ; implicit-def: $vgpr0_vgpr1_vgpr2_vgpr3
	s_branch .LBB1_596
.LBB1_594:                              ;   in Loop: Header=BB1_596 Depth=2
	s_or_b32 exec_lo, exec_lo, s9
	v_mov_b32_e32 v4, v9
	s_mov_b32 s9, s6
.LBB1_595:                              ;   in Loop: Header=BB1_596 Depth=2
	v_mov_b32_e32 v9, v4
	s_andn2_b32 vcc_lo, exec_lo, s5
	s_mov_b32 s6, s9
	s_cbranch_vccz .LBB1_89
.LBB1_596:                              ;   Parent Loop BB1_90 Depth=1
                                        ; =>  This Inner Loop Header: Depth=2
	s_ashr_i32 s7, s6, 31
	s_lshl_b64 s[4:5], s[6:7], 4
	s_add_u32 s4, s36, s4
	s_addc_u32 s5, s37, s5
	s_load_dwordx4 s[8:11], s[4:5], 0x30
	s_mov_b32 s4, exec_lo
	s_waitcnt lgkmcnt(0)
	v_and_b32_e32 v4, s10, v46
	v_cmpx_ne_u32_e32 0, v4
; %bb.597:                              ;   in Loop: Header=BB1_596 Depth=2
	v_and_b32_e32 v4, s10, v47
	v_bcnt_u32_b32 v4, v4, v45
	ds_write_b8 v4, v44
; %bb.598:                              ;   in Loop: Header=BB1_596 Depth=2
	s_or_b32 exec_lo, exec_lo, s4
	v_and_b32_e32 v4, s11, v46
	s_bcnt1_i32_b32 s4, s10
	s_mov_b32 s5, exec_lo
	v_cmpx_ne_u32_e32 0, v4
	s_cbranch_execz .LBB1_600
; %bb.599:                              ;   in Loop: Header=BB1_596 Depth=2
	v_and_b32_e32 v4, s11, v47
	v_bcnt_u32_b32 v4, v4, 0
	v_add3_u32 v4, v45, s4, v4
	ds_write_b8 v4, v56
.LBB1_600:                              ;   in Loop: Header=BB1_596 Depth=2
	s_or_b32 exec_lo, exec_lo, s5
	s_bcnt1_i32_b32 s10, s11
	s_bfe_u32 s7, s8, 0x2000f
	s_add_i32 s10, s10, s4
	s_cmp_lt_i32 s7, 1
	s_mov_b32 s4, -1
                                        ; implicit-def: $vgpr10
                                        ; implicit-def: $vgpr11
                                        ; implicit-def: $vgpr4
                                        ; implicit-def: $vgpr12
	s_cbranch_scc1 .LBB1_608
; %bb.601:                              ;   in Loop: Header=BB1_596 Depth=2
	s_cmp_lg_u32 s7, 1
                                        ; implicit-def: $vgpr10
                                        ; implicit-def: $vgpr11
                                        ; implicit-def: $vgpr4
	s_cbranch_scc0 .LBB1_603
; %bb.602:                              ;   in Loop: Header=BB1_596 Depth=2
	v_mul_hi_i32 v4, 0x66666667, v9
	s_mov_b32 s4, 0
	v_lshrrev_b32_e32 v5, 31, v4
	v_ashrrev_i32_e32 v4, 3, v4
	v_add_nc_u32_e32 v10, v4, v5
	v_mul_u32_u24_e64 v4, s10, 20
	v_mul_lo_u32 v5, v10, 20
	v_sub_nc_u32_e32 v11, v9, v5
.LBB1_603:                              ;   in Loop: Header=BB1_596 Depth=2
	s_andn2_b32 vcc_lo, exec_lo, s4
	s_movk_i32 s4, 0x140
	s_cbranch_vccnz .LBB1_605
; %bb.604:                              ;   in Loop: Header=BB1_596 Depth=2
	v_ashrrev_i32_e32 v4, 31, v9
	s_lshl_b32 s4, s10, 3
	v_lshrrev_b32_e32 v4, 29, v4
	v_add_nc_u32_e32 v4, v9, v4
	v_and_b32_e32 v5, -8, v4
	v_ashrrev_i32_e32 v10, 3, v4
	v_mov_b32_e32 v4, s4
	s_movk_i32 s4, 0x80
	v_sub_nc_u32_e32 v11, v9, v5
.LBB1_605:                              ;   in Loop: Header=BB1_596 Depth=2
	v_mov_b32_e32 v12, s4
	s_cbranch_execz .LBB1_609
.LBB1_606:                              ;   in Loop: Header=BB1_596 Depth=2
	v_cmp_eq_u32_e64 s4, 0, v9
	s_and_saveexec_b32 s5, s4
	s_cbranch_execz .LBB1_610
.LBB1_607:                              ;   in Loop: Header=BB1_596 Depth=2
	ds_write_b32 v41, v12 offset:17072
	s_or_b32 exec_lo, exec_lo, s5
	s_mov_b32 s11, exec_lo
	v_cmpx_lt_i32_e64 v9, v4
	s_cbranch_execz .LBB1_618
	s_branch .LBB1_611
.LBB1_608:                              ;   in Loop: Header=BB1_596 Depth=2
	s_andn2_b32 vcc_lo, exec_lo, s4
	s_cbranch_vccnz .LBB1_606
.LBB1_609:                              ;   in Loop: Header=BB1_596 Depth=2
	v_ashrrev_i32_e32 v4, 31, v9
	s_lshl_b32 s4, s10, 2
	v_mov_b32_e32 v12, 64
	v_lshrrev_b32_e32 v4, 30, v4
	v_add_nc_u32_e32 v4, v9, v4
	v_and_b32_e32 v5, -4, v4
	v_ashrrev_i32_e32 v10, 2, v4
	v_mov_b32_e32 v4, s4
	v_sub_nc_u32_e32 v11, v9, v5
	v_cmp_eq_u32_e64 s4, 0, v9
	s_and_saveexec_b32 s5, s4
	s_cbranch_execnz .LBB1_607
.LBB1_610:                              ;   in Loop: Header=BB1_596 Depth=2
	s_or_b32 exec_lo, exec_lo, s5
	s_mov_b32 s11, exec_lo
	v_cmpx_lt_i32_e64 v9, v4
	s_cbranch_execz .LBB1_618
.LBB1_611:                              ;   in Loop: Header=BB1_596 Depth=2
	ds_read_u8 v4, v41 offset:16536
	v_add_nc_u32_e32 v5, v45, v10
	v_lshlrev_b32_e32 v13, 4, v11
	ds_read_u8 v14, v5
	s_waitcnt lgkmcnt(1)
	v_cmp_ne_u32_e64 s5, 0, v4
	s_and_b32 vcc_lo, exec_lo, s5
	s_cbranch_vccz .LBB1_614
; %bb.612:                              ;   in Loop: Header=BB1_596 Depth=2
	s_and_b32 vcc_lo, exec_lo, s5
	s_mov_b32 s5, -1
                                        ; implicit-def: $vgpr4_vgpr5_vgpr6_vgpr7
                                        ; implicit-def: $vgpr8
	s_cbranch_vccz .LBB1_615
.LBB1_613:                              ;   in Loop: Header=BB1_596 Depth=2
	ds_read_b32 v6, v41 offset:16540
	ds_read_b64 v[4:5], v41 offset:16544
	s_waitcnt lgkmcnt(2)
	v_mul_u32_u24_e32 v7, v12, v14
	v_lshlrev_b32_e32 v8, 4, v11
	v_add3_u32 v7, v8, s9, v7
	s_waitcnt lgkmcnt(1)
	v_and_b32_e32 v6, v6, v7
	s_waitcnt lgkmcnt(0)
	v_add_co_u32 v4, vcc_lo, v4, v6
	v_add_co_ci_u32_e64 v5, null, 0, v5, vcc_lo
	flat_load_dwordx4 v[4:7], v[4:5]
	s_cbranch_execz .LBB1_616
	s_branch .LBB1_617
.LBB1_614:                              ;   in Loop: Header=BB1_596 Depth=2
	v_lshlrev_b32_e32 v0, 4, v11
	s_waitcnt lgkmcnt(0)
	v_mul_u32_u24_e32 v1, v12, v14
	v_add3_u32 v0, v0, s9, v1
	global_load_dwordx4 v[0:3], v0, s[36:37]
	s_and_b32 vcc_lo, exec_lo, s5
	s_mov_b32 s5, -1
                                        ; implicit-def: $vgpr4_vgpr5_vgpr6_vgpr7
                                        ; implicit-def: $vgpr8
	s_cbranch_vccnz .LBB1_613
.LBB1_615:                              ;   in Loop: Header=BB1_596 Depth=2
	s_andn2_b32 vcc_lo, exec_lo, s5
	s_cbranch_vccnz .LBB1_617
.LBB1_616:                              ;   in Loop: Header=BB1_596 Depth=2
	s_waitcnt vmcnt(0) lgkmcnt(0)
	v_mov_b32_e32 v7, v3
	v_mov_b32_e32 v8, v13
	;; [unrolled: 1-line block ×5, first 2 shown]
.LBB1_617:                              ;   in Loop: Header=BB1_596 Depth=2
	s_waitcnt vmcnt(0)
	v_add_nc_u32_e32 v0, s12, v10
	v_mad_u64_u32 v[10:11], null, v0, v12, v[8:9]
	s_waitcnt lgkmcnt(0)
	v_mov_b32_e32 v0, v4
	v_mov_b32_e32 v1, v5
	;; [unrolled: 1-line block ×4, first 2 shown]
	ds_write_b128 v10, v[4:7] offset:20176
.LBB1_618:                              ;   in Loop: Header=BB1_596 Depth=2
	s_or_b32 exec_lo, exec_lo, s11
	s_bitcmp0_b32 s8, 14
	v_readfirstlane_b32 s9, v0
	s_cselect_b32 s5, -1, 0
	s_mov_b32 s11, -1
	s_and_b32 vcc_lo, exec_lo, s5
                                        ; implicit-def: $vgpr4
	s_cbranch_vccnz .LBB1_620
; %bb.619:                              ;   in Loop: Header=BB1_596 Depth=2
	v_cmp_gt_i32_e32 vcc_lo, 64, v9
	s_and_b32 s9, s8, 0x3fff
	s_add_i32 s9, s9, s6
	v_cndmask_b32_e64 v4, 0, s54, vcc_lo
	v_add3_u32 v4, v9, v4, 0xffffffc0
	s_add_i32 s12, s10, s12
	s_cbranch_execnz .LBB1_595
	s_branch .LBB1_621
.LBB1_620:                              ;   in Loop: Header=BB1_596 Depth=2
	s_andn2_b32 vcc_lo, exec_lo, s11
	s_add_i32 s12, s10, s12
	s_cbranch_vccnz .LBB1_595
.LBB1_621:                              ;   in Loop: Header=BB1_596 Depth=2
	s_and_saveexec_b32 s9, s4
	s_cbranch_execz .LBB1_594
; %bb.622:                              ;   in Loop: Header=BB1_596 Depth=2
	s_and_b32 s4, s8, 0x3fff
	v_mov_b32_e32 v6, s7
	s_add_i32 s10, s4, s6
	s_cmp_lg_u32 s4, 0
	v_mov_b32_e32 v9, 0
	s_cselect_b32 s4, s10, -1
	v_mov_b32_e32 v4, s6
	s_lshr_b32 s7, s8, 17
	v_mov_b32_e32 v5, s4
	v_mov_b32_e32 v7, s12
	;; [unrolled: 1-line block ×3, first 2 shown]
	ds_write_b8 v41, v6 offset:17064
	ds_write_b64 v41, v[4:5] offset:17056
	ds_write_b32 v41, v7 offset:17068
	ds_write_b16 v41, v8 offset:17066
	s_branch .LBB1_594
	.section	.rodata,"a",@progbits
	.p2align	6, 0x0
	.amdhsa_kernel _Z23ncclDevKernel_Generic_224ncclDevKernelArgsStorageILm4096EE
		.amdhsa_group_segment_fixed_size 21216
		.amdhsa_private_segment_fixed_size 0
		.amdhsa_kernarg_size 4352
		.amdhsa_user_sgpr_count 14
		.amdhsa_user_sgpr_private_segment_buffer 1
		.amdhsa_user_sgpr_dispatch_ptr 1
		.amdhsa_user_sgpr_queue_ptr 1
		.amdhsa_user_sgpr_kernarg_segment_ptr 1
		.amdhsa_user_sgpr_dispatch_id 1
		.amdhsa_user_sgpr_flat_scratch_init 1
		.amdhsa_user_sgpr_private_segment_size 0
		.amdhsa_wavefront_size32 1
		.amdhsa_uses_dynamic_stack 1
		.amdhsa_system_sgpr_private_segment_wavefront_offset 1
		.amdhsa_system_sgpr_workgroup_id_x 1
		.amdhsa_system_sgpr_workgroup_id_y 1
		.amdhsa_system_sgpr_workgroup_id_z 1
		.amdhsa_system_sgpr_workgroup_info 0
		.amdhsa_system_vgpr_workitem_id 2
		.amdhsa_next_free_vgpr max(totalnumvgprs(_Z23ncclDevKernel_Generic_224ncclDevKernelArgsStorageILm4096EE.num_agpr, _Z23ncclDevKernel_Generic_224ncclDevKernelArgsStorageILm4096EE.num_vgpr), 1, 65)
		.amdhsa_next_free_sgpr max(_Z23ncclDevKernel_Generic_224ncclDevKernelArgsStorageILm4096EE.numbered_sgpr+2, 1, 0)-2
		.amdhsa_reserve_vcc 1
		.amdhsa_reserve_flat_scratch 1
		.amdhsa_float_round_mode_32 0
		.amdhsa_float_round_mode_16_64 0
		.amdhsa_float_denorm_mode_32 3
		.amdhsa_float_denorm_mode_16_64 3
		.amdhsa_dx10_clamp 1
		.amdhsa_ieee_mode 1
		.amdhsa_fp16_overflow 0
		.amdhsa_workgroup_processor_mode 1
		.amdhsa_memory_ordered 1
		.amdhsa_forward_progress 1
		.amdhsa_shared_vgpr_count 0
		.amdhsa_exception_fp_ieee_invalid_op 0
		.amdhsa_exception_fp_denorm_src 0
		.amdhsa_exception_fp_ieee_div_zero 0
		.amdhsa_exception_fp_ieee_overflow 0
		.amdhsa_exception_fp_ieee_underflow 0
		.amdhsa_exception_fp_ieee_inexact 0
		.amdhsa_exception_int_div_zero 0
	.end_amdhsa_kernel
	.text
.Lfunc_end1:
	.size	_Z23ncclDevKernel_Generic_224ncclDevKernelArgsStorageILm4096EE, .Lfunc_end1-_Z23ncclDevKernel_Generic_224ncclDevKernelArgsStorageILm4096EE
                                        ; -- End function
	.set _Z23ncclDevKernel_Generic_224ncclDevKernelArgsStorageILm4096EE.num_vgpr, max(58, amdgpu.max_num_vgpr)
	.set _Z23ncclDevKernel_Generic_224ncclDevKernelArgsStorageILm4096EE.num_agpr, max(0, amdgpu.max_num_agpr)
	.set _Z23ncclDevKernel_Generic_224ncclDevKernelArgsStorageILm4096EE.numbered_sgpr, max(66, amdgpu.max_num_sgpr)
	.set _Z23ncclDevKernel_Generic_224ncclDevKernelArgsStorageILm4096EE.num_named_barrier, max(0, amdgpu.max_num_named_barrier)
	.set _Z23ncclDevKernel_Generic_224ncclDevKernelArgsStorageILm4096EE.private_seg_size, 0
	.set _Z23ncclDevKernel_Generic_224ncclDevKernelArgsStorageILm4096EE.uses_vcc, 1
	.set _Z23ncclDevKernel_Generic_224ncclDevKernelArgsStorageILm4096EE.uses_flat_scratch, 1
	.set _Z23ncclDevKernel_Generic_224ncclDevKernelArgsStorageILm4096EE.has_dyn_sized_stack, 1
	.set _Z23ncclDevKernel_Generic_224ncclDevKernelArgsStorageILm4096EE.has_recursion, 1
	.set _Z23ncclDevKernel_Generic_224ncclDevKernelArgsStorageILm4096EE.has_indirect_call, 1
	.section	.AMDGPU.csdata,"",@progbits
; Kernel info:
; codeLenInByte = 15948
; TotalNumSgprs: _Z23ncclDevKernel_Generic_224ncclDevKernelArgsStorageILm4096EE.numbered_sgpr+2
; NumVgprs: _Z23ncclDevKernel_Generic_224ncclDevKernelArgsStorageILm4096EE.num_vgpr
; ScratchSize: 0
; MemoryBound: 0
; FloatMode: 240
; IeeeMode: 1
; LDSByteSize: 21216 bytes/workgroup (compile time only)
; SGPRBlocks: 0
; VGPRBlocks: (alignto(max(max(totalnumvgprs(_Z23ncclDevKernel_Generic_224ncclDevKernelArgsStorageILm4096EE.num_agpr, _Z23ncclDevKernel_Generic_224ncclDevKernelArgsStorageILm4096EE.num_vgpr), 1, 65), 1), 8)/8)-1
; NumSGPRsForWavesPerEU: max(_Z23ncclDevKernel_Generic_224ncclDevKernelArgsStorageILm4096EE.numbered_sgpr+2, 1, 0)
; NumVGPRsForWavesPerEU: max(totalnumvgprs(_Z23ncclDevKernel_Generic_224ncclDevKernelArgsStorageILm4096EE.num_agpr, _Z23ncclDevKernel_Generic_224ncclDevKernelArgsStorageILm4096EE.num_vgpr), 1, 65)
; Occupancy: occupancy(16, 16, 1024, 9, 12, max(_Z23ncclDevKernel_Generic_224ncclDevKernelArgsStorageILm4096EE.numbered_sgpr+extrasgprs(_Z23ncclDevKernel_Generic_224ncclDevKernelArgsStorageILm4096EE.uses_vcc, _Z23ncclDevKernel_Generic_224ncclDevKernelArgsStorageILm4096EE.uses_flat_scratch, 0), 1, 0), max(totalnumvgprs(_Z23ncclDevKernel_Generic_224ncclDevKernelArgsStorageILm4096EE.num_agpr, _Z23ncclDevKernel_Generic_224ncclDevKernelArgsStorageILm4096EE.num_vgpr), 1, 65))
; WaveLimiterHint : 0
; COMPUTE_PGM_RSRC2:SCRATCH_EN: 1
; COMPUTE_PGM_RSRC2:USER_SGPR: 14
; COMPUTE_PGM_RSRC2:TRAP_HANDLER: 0
; COMPUTE_PGM_RSRC2:TGID_X_EN: 1
; COMPUTE_PGM_RSRC2:TGID_Y_EN: 1
; COMPUTE_PGM_RSRC2:TGID_Z_EN: 1
; COMPUTE_PGM_RSRC2:TIDIG_COMP_CNT: 2
	.text
	.protected	_Z23ncclDevKernel_Generic_424ncclDevKernelArgsStorageILm4096EE ; -- Begin function _Z23ncclDevKernel_Generic_424ncclDevKernelArgsStorageILm4096EE
	.globl	_Z23ncclDevKernel_Generic_424ncclDevKernelArgsStorageILm4096EE
	.p2align	8
	.type	_Z23ncclDevKernel_Generic_424ncclDevKernelArgsStorageILm4096EE,@function
_Z23ncclDevKernel_Generic_424ncclDevKernelArgsStorageILm4096EE: ; @_Z23ncclDevKernel_Generic_424ncclDevKernelArgsStorageILm4096EE
; %bb.0:
	s_add_u32 s12, s12, s17
	s_mov_b32 s32, 0
	s_addc_u32 s13, s13, 0
	s_setreg_b32 hwreg(HW_REG_FLAT_SCR_LO), s12
	s_setreg_b32 hwreg(HW_REG_FLAT_SCR_HI), s13
	s_add_u32 s0, s0, s17
	s_addc_u32 s1, s1, 0
	s_mov_b32 s33, s16
	s_mov_b32 s50, s15
	;; [unrolled: 1-line block ×3, first 2 shown]
	s_mov_b64 s[34:35], s[10:11]
	s_mov_b64 s[36:37], s[8:9]
	;; [unrolled: 1-line block ×4, first 2 shown]
	s_mov_b32 s4, exec_lo
	v_cmpx_gt_u32_e32 12, v0
	s_cbranch_execz .LBB2_2
; %bb.1:
	v_lshlrev_b32_e32 v3, 2, v0
	global_load_dword v4, v3, s[36:37]
	s_waitcnt vmcnt(0)
	ds_write_b32 v3, v4 offset:16512
.LBB2_2:
	s_or_b32 exec_lo, exec_lo, s4
	s_load_dword s8, s[36:37], 0x100c
	v_lshrrev_b32_e32 v12, 5, v0
	v_mov_b32_e32 v5, v0
	s_mov_b32 s4, exec_lo
	v_cmpx_lt_i32_e32 0, v12
	s_xor_b32 s4, exec_lo, s4
	s_cbranch_execz .LBB2_16
; %bb.3:
	s_mov_b32 s5, exec_lo
	v_cmpx_lt_i32_e32 2, v12
	s_xor_b32 s5, exec_lo, s5
	s_cbranch_execz .LBB2_8
; %bb.4:
	s_mov_b32 s6, exec_lo
	v_cmpx_eq_u32_e32 3, v12
	s_cbranch_execz .LBB2_7
; %bb.5:
	v_cmp_eq_u32_e32 vcc_lo, 0x60, v0
	s_and_b32 exec_lo, exec_lo, vcc_lo
; %bb.6:
	v_mov_b32_e32 v3, 0
	ds_write_b32 v3, v3 offset:16564
.LBB2_7:
	s_or_b32 exec_lo, exec_lo, s6
.LBB2_8:
	s_andn2_saveexec_b32 s5, s5
	s_cbranch_execz .LBB2_15
; %bb.9:
	s_mov_b32 s6, exec_lo
	v_cmpx_eq_u32_e32 1, v12
	s_cbranch_execz .LBB2_14
; %bb.10:
	v_cmp_gt_u32_e32 vcc_lo, 40, v0
	s_and_b32 exec_lo, exec_lo, vcc_lo
	s_cbranch_execz .LBB2_14
; %bb.11:
	s_mov_b32 s7, exec_lo
	v_cmpx_eq_u32_e32 32, v0
; %bb.12:
	v_mov_b32_e32 v3, 0
	v_mov_b32_e32 v4, v3
	ds_write_b64 v3, v[3:4] offset:21208
; %bb.13:
	s_or_b32 exec_lo, exec_lo, s7
	v_mov_b32_e32 v3, 0
	v_mul_u32_u24_e32 v5, 0x160, v0
	v_mov_b32_e32 v4, v3
	ds_write_b64 v5, v[3:4] offset:6104
.LBB2_14:
	s_or_b32 exec_lo, exec_lo, s6
.LBB2_15:
	s_or_b32 exec_lo, exec_lo, s5
                                        ; implicit-def: $vgpr5
.LBB2_16:
	s_andn2_saveexec_b32 s9, s4
	s_cbranch_execz .LBB2_22
; %bb.17:
	s_load_dwordx2 s[6:7], s[36:37], 0x8
	v_lshlrev_b64 v[3:4], v0, 1
	s_mov_b32 s10, 0
	s_mov_b32 s5, exec_lo
	s_waitcnt lgkmcnt(0)
	v_and_b32_e32 v7, s7, v4
	v_and_b32_e32 v6, s6, v3
	v_cmp_eq_u64_e64 s4, 0, v[6:7]
	v_cmpx_ne_u64_e32 0, v[6:7]
	s_cbranch_execz .LBB2_56
; %bb.18:
	v_add_co_u32 v3, vcc_lo, v3, -1
	v_add_co_ci_u32_e64 v4, null, -1, v4, vcc_lo
	s_andn2_b32 s4, s4, exec_lo
	v_and_b32_e32 v3, s6, v3
	s_mov_b32 s10, exec_lo
	v_and_b32_e32 v4, s7, v4
	v_bcnt_u32_b32 v3, v3, 0
	v_bcnt_u32_b32 v3, v4, v3
	v_cmp_ne_u32_e32 vcc_lo, s51, v3
	s_and_b32 s11, vcc_lo, exec_lo
	s_or_b32 s4, s4, s11
	s_or_b32 exec_lo, exec_lo, s5
	v_mov_b32_e32 v3, 0
	s_and_saveexec_b32 s11, s4
	s_cbranch_execnz .LBB2_57
.LBB2_19:
	s_or_b32 exec_lo, exec_lo, s11
	s_and_saveexec_b32 s4, s10
.LBB2_20:
	v_add_nc_u32_e32 v3, v3, v5
	v_mov_b32_e32 v4, 0
	ds_write_b32 v4, v3 offset:16560
.LBB2_21:
	s_or_b32 exec_lo, exec_lo, s4
.LBB2_22:
	s_or_b32 exec_lo, exec_lo, s9
	v_cmp_eq_u32_e64 s52, 0, v0
	s_waitcnt lgkmcnt(0)
	s_barrier
	buffer_gl0_inv
	s_and_saveexec_b32 s4, s52
	s_cbranch_execz .LBB2_24
; %bb.23:
	v_mov_b32_e32 v5, 0
	ds_read_b32 v6, v5 offset:16560
	ds_read_b64 v[3:4], v5 offset:16512
	s_waitcnt lgkmcnt(1)
	v_mul_lo_u32 v7, 0x180, v6
	v_mul_hi_i32 v6, 0x180, v6
	s_waitcnt lgkmcnt(0)
	v_add_co_u32 v3, vcc_lo, v3, v7
	v_add_co_ci_u32_e64 v4, null, v4, v6, vcc_lo
	flat_load_dwordx2 v[3:4], v[3:4] offset:464
	ds_write_b32 v5, v5 offset:16564
	s_waitcnt vmcnt(0) lgkmcnt(1)
	ds_write_b64 v5, v[3:4] offset:17040
.LBB2_24:
	s_or_b32 exec_lo, exec_lo, s4
	s_and_b32 s54, 0xffff, s8
	s_mov_b32 s4, exec_lo
	v_cmpx_lt_i32_e32 0, v12
	s_xor_b32 s10, exec_lo, s4
	s_cbranch_execz .LBB2_71
; %bb.25:
	s_mov_b32 s4, exec_lo
	v_cmpx_ne_u32_e32 1, v12
	s_xor_b32 s11, exec_lo, s4
	s_cbranch_execz .LBB2_66
; %bb.26:
	v_subrev_nc_u32_e32 v19, 64, v0
	v_mul_u32_u24_e32 v14, 0x810, v12
	v_mov_b32_e32 v18, 0
	s_sub_i32 s12, s54, 64
	s_mov_b32 s13, 0
	v_lshrrev_b16 v3, 11, v19
	s_mov_b32 s6, s51
	v_add_nc_u16 v3, v19, v3
	v_and_b32_e32 v3, 0xffffffe0, v3
	v_sub_nc_u16 v13, v19, v3
	v_and_b32_e32 v3, 0xffff, v13
	v_add_nc_u16 v15, v13, 32
	v_lshlrev_b32_e64 v16, v3, 1
	v_bfm_b32 v17, v3, 0
                                        ; implicit-def: $vgpr3_vgpr4_vgpr5_vgpr6
	s_branch .LBB2_29
.LBB2_27:                               ;   in Loop: Header=BB2_29 Depth=1
	s_or_b32 exec_lo, exec_lo, s9
	v_mov_b32_e32 v7, v19
	s_mov_b32 s9, s6
.LBB2_28:                               ;   in Loop: Header=BB2_29 Depth=1
	v_mov_b32_e32 v19, v7
	s_andn2_b32 vcc_lo, exec_lo, s5
	s_mov_b32 s6, s9
	s_cbranch_vccz .LBB2_66
.LBB2_29:                               ; =>This Inner Loop Header: Depth=1
	s_ashr_i32 s7, s6, 31
	s_lshl_b64 s[4:5], s[6:7], 4
	s_mov_b32 s7, exec_lo
	s_add_u32 s8, s36, s4
	s_addc_u32 s9, s37, s5
	s_load_dwordx2 s[4:5], s[8:9], 0x38
	s_waitcnt lgkmcnt(0)
	v_and_b32_e32 v7, s4, v16
	v_cmpx_ne_u32_e32 0, v7
; %bb.30:                               ;   in Loop: Header=BB2_29 Depth=1
	v_and_b32_e32 v7, s4, v17
	v_bcnt_u32_b32 v7, v7, v14
	ds_write_b8 v7, v13
; %bb.31:                               ;   in Loop: Header=BB2_29 Depth=1
	s_or_b32 exec_lo, exec_lo, s7
	s_load_dwordx2 s[8:9], s[8:9], 0x30
	v_and_b32_e32 v7, s5, v16
	s_bcnt1_i32_b32 s4, s4
	s_mov_b32 s7, exec_lo
	v_cmpx_ne_u32_e32 0, v7
	s_cbranch_execz .LBB2_33
; %bb.32:                               ;   in Loop: Header=BB2_29 Depth=1
	v_and_b32_e32 v7, s5, v17
	v_bcnt_u32_b32 v7, v7, 0
	v_add3_u32 v7, v14, s4, v7
	ds_write_b8 v7, v15
.LBB2_33:                               ;   in Loop: Header=BB2_29 Depth=1
	s_or_b32 exec_lo, exec_lo, s7
	s_bcnt1_i32_b32 s14, s5
	s_waitcnt lgkmcnt(0)
	s_bfe_u32 s7, s8, 0x2000f
	s_add_i32 s14, s14, s4
	s_cmp_lt_i32 s7, 1
	s_mov_b32 s4, -1
                                        ; implicit-def: $vgpr20
                                        ; implicit-def: $vgpr21
                                        ; implicit-def: $vgpr7
                                        ; implicit-def: $vgpr22
	s_cbranch_scc1 .LBB2_41
; %bb.34:                               ;   in Loop: Header=BB2_29 Depth=1
	s_cmp_lg_u32 s7, 1
                                        ; implicit-def: $vgpr20
                                        ; implicit-def: $vgpr21
                                        ; implicit-def: $vgpr7
	s_cbranch_scc0 .LBB2_36
; %bb.35:                               ;   in Loop: Header=BB2_29 Depth=1
	v_mul_hi_i32 v7, 0x66666667, v19
	s_mov_b32 s4, 0
	v_lshrrev_b32_e32 v8, 31, v7
	v_ashrrev_i32_e32 v7, 3, v7
	v_add_nc_u32_e32 v20, v7, v8
	v_mul_u32_u24_e64 v7, s14, 20
	v_mul_lo_u32 v8, v20, 20
	v_sub_nc_u32_e32 v21, v19, v8
.LBB2_36:                               ;   in Loop: Header=BB2_29 Depth=1
	s_andn2_b32 vcc_lo, exec_lo, s4
	s_movk_i32 s4, 0x140
	s_cbranch_vccnz .LBB2_38
; %bb.37:                               ;   in Loop: Header=BB2_29 Depth=1
	v_ashrrev_i32_e32 v7, 31, v19
	s_lshl_b32 s4, s14, 3
	v_lshrrev_b32_e32 v7, 29, v7
	v_add_nc_u32_e32 v7, v19, v7
	v_and_b32_e32 v8, -8, v7
	v_ashrrev_i32_e32 v20, 3, v7
	v_mov_b32_e32 v7, s4
	s_movk_i32 s4, 0x80
	v_sub_nc_u32_e32 v21, v19, v8
.LBB2_38:                               ;   in Loop: Header=BB2_29 Depth=1
	v_mov_b32_e32 v22, s4
	s_cbranch_execz .LBB2_42
.LBB2_39:                               ;   in Loop: Header=BB2_29 Depth=1
	v_cmp_eq_u32_e64 s4, 0, v19
	s_and_saveexec_b32 s5, s4
	s_cbranch_execz .LBB2_43
.LBB2_40:                               ;   in Loop: Header=BB2_29 Depth=1
	ds_write_b32 v18, v22 offset:17072
	s_or_b32 exec_lo, exec_lo, s5
	s_mov_b32 s15, exec_lo
	v_cmpx_lt_i32_e64 v19, v7
	s_cbranch_execz .LBB2_51
	s_branch .LBB2_44
.LBB2_41:                               ;   in Loop: Header=BB2_29 Depth=1
	s_andn2_b32 vcc_lo, exec_lo, s4
	s_cbranch_vccnz .LBB2_39
.LBB2_42:                               ;   in Loop: Header=BB2_29 Depth=1
	v_ashrrev_i32_e32 v7, 31, v19
	s_lshl_b32 s4, s14, 2
	v_mov_b32_e32 v22, 64
	v_lshrrev_b32_e32 v7, 30, v7
	v_add_nc_u32_e32 v7, v19, v7
	v_and_b32_e32 v8, -4, v7
	v_ashrrev_i32_e32 v20, 2, v7
	v_mov_b32_e32 v7, s4
	v_sub_nc_u32_e32 v21, v19, v8
	v_cmp_eq_u32_e64 s4, 0, v19
	s_and_saveexec_b32 s5, s4
	s_cbranch_execnz .LBB2_40
.LBB2_43:                               ;   in Loop: Header=BB2_29 Depth=1
	s_or_b32 exec_lo, exec_lo, s5
	s_mov_b32 s15, exec_lo
	v_cmpx_lt_i32_e64 v19, v7
	s_cbranch_execz .LBB2_51
.LBB2_44:                               ;   in Loop: Header=BB2_29 Depth=1
	ds_read_u8 v7, v18 offset:16536
	v_add_nc_u32_e32 v8, v14, v20
	ds_read_u8 v23, v8
	s_waitcnt lgkmcnt(1)
	v_cmp_ne_u32_e64 s5, 0, v7
	s_and_b32 vcc_lo, exec_lo, s5
	s_cbranch_vccz .LBB2_47
; %bb.45:                               ;   in Loop: Header=BB2_29 Depth=1
	s_and_b32 vcc_lo, exec_lo, s5
	s_mov_b32 s5, -1
                                        ; implicit-def: $vgpr7_vgpr8_vgpr9_vgpr10
                                        ; implicit-def: $vgpr11
	s_cbranch_vccz .LBB2_48
.LBB2_46:                               ;   in Loop: Header=BB2_29 Depth=1
	ds_read_b32 v9, v18 offset:16540
	ds_read_b64 v[7:8], v18 offset:16544
	s_waitcnt lgkmcnt(2)
	v_mul_u32_u24_e32 v10, v22, v23
	v_lshlrev_b32_e32 v11, 4, v21
	v_add3_u32 v10, v11, s9, v10
	s_waitcnt lgkmcnt(1)
	v_and_b32_e32 v9, v9, v10
	s_waitcnt lgkmcnt(0)
	v_add_co_u32 v7, vcc_lo, v7, v9
	v_add_co_ci_u32_e64 v8, null, 0, v8, vcc_lo
	flat_load_dwordx4 v[7:10], v[7:8]
	s_cbranch_execz .LBB2_49
	s_branch .LBB2_50
.LBB2_47:                               ;   in Loop: Header=BB2_29 Depth=1
	v_lshlrev_b32_e32 v3, 4, v21
	s_waitcnt lgkmcnt(0)
	v_mul_u32_u24_e32 v4, v22, v23
	v_add3_u32 v3, v3, s9, v4
	global_load_dwordx4 v[3:6], v3, s[36:37]
	s_and_b32 vcc_lo, exec_lo, s5
	s_mov_b32 s5, -1
                                        ; implicit-def: $vgpr7_vgpr8_vgpr9_vgpr10
                                        ; implicit-def: $vgpr11
	s_cbranch_vccnz .LBB2_46
.LBB2_48:                               ;   in Loop: Header=BB2_29 Depth=1
	s_andn2_b32 vcc_lo, exec_lo, s5
	s_cbranch_vccnz .LBB2_50
.LBB2_49:                               ;   in Loop: Header=BB2_29 Depth=1
	s_waitcnt vmcnt(0) lgkmcnt(0)
	v_mov_b32_e32 v10, v6
	v_lshlrev_b32_e32 v11, 4, v21
	v_mov_b32_e32 v9, v5
	v_mov_b32_e32 v8, v4
	;; [unrolled: 1-line block ×3, first 2 shown]
.LBB2_50:                               ;   in Loop: Header=BB2_29 Depth=1
	s_waitcnt vmcnt(0)
	v_add_nc_u32_e32 v3, s13, v20
	v_mad_u64_u32 v[20:21], null, v3, v22, v[11:12]
	s_waitcnt lgkmcnt(0)
	v_mov_b32_e32 v3, v7
	v_mov_b32_e32 v4, v8
	;; [unrolled: 1-line block ×4, first 2 shown]
	ds_write_b128 v20, v[7:10] offset:20176
.LBB2_51:                               ;   in Loop: Header=BB2_29 Depth=1
	s_or_b32 exec_lo, exec_lo, s15
	s_bitcmp0_b32 s8, 14
	v_readfirstlane_b32 s9, v0
	s_cselect_b32 s5, -1, 0
	s_mov_b32 s15, -1
	s_and_b32 vcc_lo, exec_lo, s5
                                        ; implicit-def: $vgpr7
	s_cbranch_vccnz .LBB2_53
; %bb.52:                               ;   in Loop: Header=BB2_29 Depth=1
	v_cmp_gt_i32_e32 vcc_lo, 64, v19
	s_and_b32 s9, s8, 0x3fff
	s_add_i32 s9, s9, s6
	v_cndmask_b32_e64 v7, 0, s12, vcc_lo
	v_add3_u32 v7, v19, v7, 0xffffffc0
	s_add_i32 s13, s14, s13
	s_cbranch_execnz .LBB2_28
	s_branch .LBB2_54
.LBB2_53:                               ;   in Loop: Header=BB2_29 Depth=1
	s_andn2_b32 vcc_lo, exec_lo, s15
	s_add_i32 s13, s14, s13
	s_cbranch_vccnz .LBB2_28
.LBB2_54:                               ;   in Loop: Header=BB2_29 Depth=1
	s_and_saveexec_b32 s9, s4
	s_cbranch_execz .LBB2_27
; %bb.55:                               ;   in Loop: Header=BB2_29 Depth=1
	s_and_b32 s4, s8, 0x3fff
	v_mov_b32_e32 v9, s7
	s_add_i32 s14, s4, s6
	s_cmp_lg_u32 s4, 0
	v_mov_b32_e32 v19, 0
	s_cselect_b32 s4, s14, -1
	v_mov_b32_e32 v7, s6
	s_lshr_b32 s7, s8, 17
	v_mov_b32_e32 v8, s4
	v_mov_b32_e32 v10, s13
	;; [unrolled: 1-line block ×3, first 2 shown]
	ds_write_b8 v18, v9 offset:17064
	ds_write_b64 v18, v[7:8] offset:17056
	ds_write_b32 v18, v10 offset:17068
	ds_write_b16 v18, v11 offset:17066
	s_branch .LBB2_27
.LBB2_56:
	s_or_b32 exec_lo, exec_lo, s5
	v_mov_b32_e32 v3, 0
	s_and_saveexec_b32 s11, s4
	s_cbranch_execz .LBB2_19
.LBB2_57:
	v_add_nc_u32_e32 v5, 32, v0
	v_lshlrev_b64 v[3:4], v5, 1
	v_and_b32_e32 v7, s7, v4
	v_and_b32_e32 v6, s6, v3
	v_cmp_eq_u64_e64 s5, 0, v[6:7]
	v_cmp_ne_u64_e32 vcc_lo, 0, v[6:7]
	v_add_co_u32 v6, s4, v3, -1
	v_add_co_ci_u32_e64 v7, null, -1, v4, s4
	s_and_saveexec_b32 s4, vcc_lo
	s_cbranch_execz .LBB2_61
; %bb.58:
	v_and_b32_e32 v8, s6, v6
	v_and_b32_e32 v9, s7, v7
	s_mov_b32 s12, -1
	s_mov_b32 s13, exec_lo
	v_bcnt_u32_b32 v8, v8, 0
	v_bcnt_u32_b32 v9, v9, v8
	v_mov_b32_e32 v8, 0
	v_cmpx_eq_u32_e64 s51, v9
; %bb.59:
	s_xor_b32 s12, exec_lo, -1
	ds_write_b32 v8, v5 offset:16560
; %bb.60:
	s_or_b32 exec_lo, exec_lo, s13
	s_andn2_b32 s5, s5, exec_lo
	s_and_b32 s12, s12, exec_lo
	s_or_b32 s5, s5, s12
.LBB2_61:
	s_or_b32 exec_lo, exec_lo, s4
	s_mov_b32 s4, 0
                                        ; implicit-def: $sgpr13
	s_and_saveexec_b32 s12, s5
	s_cbranch_execz .LBB2_65
; %bb.62:
	s_load_dwordx2 s[4:5], s[36:37], 0x10
	s_mov_b32 s15, 0
	s_mov_b32 s14, exec_lo
                                        ; implicit-def: $sgpr13
	s_waitcnt lgkmcnt(0)
	v_and_b32_e32 v4, s5, v4
	v_and_b32_e32 v3, s4, v3
	v_cmpx_ne_u64_e32 0, v[3:4]
	s_xor_b32 s14, exec_lo, s14
	s_cbranch_execz .LBB2_64
; %bb.63:
	v_and_b32_e32 v3, s4, v6
	v_and_b32_e32 v4, s5, v7
	s_bcnt1_i32_b64 s13, s[6:7]
	v_bcnt_u32_b32 v3, v3, 0
	v_bcnt_u32_b32 v3, v4, v3
	v_add_nc_u32_e32 v3, s13, v3
	v_cmp_eq_u32_e32 vcc_lo, s51, v3
	s_and_b32 s15, vcc_lo, exec_lo
.LBB2_64:
	s_or_b32 exec_lo, exec_lo, s14
	s_and_b32 s4, s15, exec_lo
.LBB2_65:
	s_or_b32 exec_lo, exec_lo, s12
	v_mov_b32_e32 v3, s13
	s_andn2_b32 s5, s10, exec_lo
	s_and_b32 s4, s4, exec_lo
	s_or_b32 s10, s5, s4
	s_or_b32 exec_lo, exec_lo, s11
	s_and_saveexec_b32 s4, s10
	s_cbranch_execnz .LBB2_20
	s_branch .LBB2_21
.LBB2_66:
	s_andn2_saveexec_b32 s4, s11
	s_cbranch_execz .LBB2_70
; %bb.67:
	s_mov_b32 s5, exec_lo
	v_cmpx_gt_u32_e32 56, v0
	s_cbranch_execz .LBB2_69
; %bb.68:
	v_mov_b32_e32 v3, 0
	v_lshlrev_b32_e32 v7, 4, v0
	ds_read_b32 v5, v3 offset:16560
	ds_read_b64 v[3:4], v3 offset:16512
	v_add_nc_u32_e32 v8, 0xfffffe00, v7
	v_ashrrev_i32_e32 v9, 31, v8
	s_waitcnt lgkmcnt(1)
	v_mul_lo_u32 v6, 0x180, v5
	v_mul_hi_i32 v5, 0x180, v5
	s_waitcnt lgkmcnt(0)
	v_add_co_u32 v3, vcc_lo, v3, v6
	v_add_co_ci_u32_e64 v4, null, v4, v5, vcc_lo
	v_add_co_u32 v3, vcc_lo, v3, v8
	v_add_co_ci_u32_e64 v4, null, v4, v9, vcc_lo
	flat_load_dwordx4 v[3:6], v[3:4] offset:96
	s_waitcnt vmcnt(0) lgkmcnt(0)
	ds_write_b128 v7, v[3:6] offset:16160
.LBB2_69:
	s_or_b32 exec_lo, exec_lo, s5
.LBB2_70:
	s_or_b32 exec_lo, exec_lo, s4
.LBB2_71:
	s_andn2_saveexec_b32 s4, s10
	s_cbranch_execz .LBB2_75
; %bb.72:
	s_mov_b32 s5, exec_lo
	v_cmpx_gt_u32_e32 6, v0
	s_cbranch_execz .LBB2_74
; %bb.73:
	v_mov_b32_e32 v3, 0
	v_lshlrev_b32_e32 v7, 4, v0
	ds_read_b64 v[3:4], v3 offset:16512
	s_waitcnt lgkmcnt(0)
	v_add_co_u32 v3, vcc_lo, v3, v7
	v_add_co_ci_u32_e64 v4, null, 0, v4, vcc_lo
	flat_load_dwordx4 v[3:6], v[3:4]
	s_waitcnt vmcnt(0) lgkmcnt(0)
	ds_write_b128 v7, v[3:6] offset:16576
.LBB2_74:
	s_or_b32 exec_lo, exec_lo, s5
.LBB2_75:
	s_or_b32 exec_lo, exec_lo, s4
	v_mov_b32_e32 v41, 0
	s_waitcnt lgkmcnt(0)
	s_barrier
	buffer_gl0_inv
	ds_read_b32 v3, v41 offset:16564
	s_waitcnt lgkmcnt(0)
	v_cmp_ne_u32_e32 vcc_lo, 0, v3
	s_cbranch_vccz .LBB2_88
.LBB2_76:
	s_and_saveexec_b32 s4, s52
	s_cbranch_execz .LBB2_87
; %bb.77:
	v_mov_b32_e32 v6, 0
	ds_read_b32 v7, v6 offset:17068
	ds_read_b64 v[2:3], v6 offset:17040
	s_waitcnt lgkmcnt(1)
	v_ashrrev_i32_e32 v5, 31, v7
	s_waitcnt lgkmcnt(0)
	v_add_co_u32 v0, vcc_lo, v2, 1
	v_add_co_ci_u32_e64 v1, null, 0, v3, vcc_lo
	v_add_co_u32 v4, vcc_lo, v2, v7
	v_add_co_ci_u32_e64 v5, null, v3, v5, vcc_lo
	v_cmp_gt_u64_e32 vcc_lo, v[0:1], v[4:5]
	s_cbranch_vccnz .LBB2_86
; %bb.78:
	ds_read_u8 v8, v6 offset:17064
	s_movk_i32 s4, 0x4f0e
	s_movk_i32 s5, 0x4eda
	s_branch .LBB2_80
.LBB2_79:                               ;   in Loop: Header=BB2_80 Depth=1
	s_waitcnt lgkmcnt(0)
	v_ashrrev_i32_e32 v5, 31, v7
	v_add_co_u32 v0, vcc_lo, v0, 1
	v_add_co_ci_u32_e64 v1, null, 0, v1, vcc_lo
	v_add_co_u32 v4, vcc_lo, v2, v7
	v_add_co_ci_u32_e64 v5, null, v3, v5, vcc_lo
	s_add_i32 s4, s4, 64
	s_addk_i32 s5, 0x80
	v_cmp_le_u64_e32 vcc_lo, v[0:1], v[4:5]
	s_cbranch_vccz .LBB2_86
.LBB2_80:                               ; =>This Inner Loop Header: Depth=1
	s_waitcnt lgkmcnt(0)
	v_cmp_ne_u32_sdwa s6, v8, v6 src0_sel:BYTE_0 src1_sel:DWORD
	s_and_b32 vcc_lo, exec_lo, s6
	s_cbranch_vccz .LBB2_85
; %bb.81:                               ;   in Loop: Header=BB2_80 Depth=1
	v_mov_b32_e32 v4, s5
	ds_read_u8 v4, v4
	s_waitcnt lgkmcnt(0)
	v_and_b32_e32 v4, 1, v4
	s_cbranch_execnz .LBB2_83
.LBB2_82:                               ;   in Loop: Header=BB2_80 Depth=1
	v_mov_b32_e32 v4, s4
	ds_read_u16 v4, v4
	s_waitcnt lgkmcnt(0)
	v_bfe_u32 v4, v4, 6, 1
.LBB2_83:                               ;   in Loop: Header=BB2_80 Depth=1
	v_cmp_eq_u32_e32 vcc_lo, 0, v4
	s_cbranch_vccnz .LBB2_79
; %bb.84:                               ;   in Loop: Header=BB2_80 Depth=1
	s_memrealtime s[6:7]
	ds_read_u8 v8, v6 offset:17064
	ds_read_b32 v2, v6 offset:16560
	ds_read_b64 v[4:5], v6 offset:16664
	v_and_b32_e32 v7, 63, v0
	v_lshlrev_b32_e32 v7, 4, v7
	s_waitcnt lgkmcnt(0)
	v_ashrrev_i32_e32 v3, 31, v2
	v_lshlrev_b64 v[9:10], 10, v[2:3]
	v_mov_b32_e32 v2, s6
	v_mov_b32_e32 v3, s7
	v_add_co_u32 v4, vcc_lo, v4, v9
	v_add_co_ci_u32_e64 v5, null, v5, v10, vcc_lo
	v_add_co_u32 v4, vcc_lo, v4, v7
	v_add_co_ci_u32_e64 v5, null, 0, v5, vcc_lo
	flat_store_dwordx4 v[4:5], v[0:3]
	ds_read_b64 v[2:3], v6 offset:17040
	ds_read_b32 v7, v6 offset:17068
	s_branch .LBB2_79
.LBB2_85:                               ;   in Loop: Header=BB2_80 Depth=1
                                        ; implicit-def: $vgpr4
	s_branch .LBB2_82
.LBB2_86:
	v_mov_b32_e32 v2, 0
	ds_read_b32 v3, v2 offset:16560
	ds_read_b64 v[0:1], v2 offset:16512
	ds_write_b64 v2, v[4:5] offset:17040
	s_waitcnt lgkmcnt(2)
	v_mul_lo_u32 v6, 0x180, v3
	v_mul_hi_i32 v3, 0x180, v3
	s_waitcnt lgkmcnt(1)
	v_add_co_u32 v0, vcc_lo, v0, v6
	v_add_co_ci_u32_e64 v1, null, v1, v3, vcc_lo
	flat_store_dwordx2 v[0:1], v[4:5] offset:464
.LBB2_87:
	s_endpgm
.LBB2_88:
	v_and_b32_e32 v44, 31, v0
	v_lshlrev_b32_e32 v2, 20, v2
	v_lshlrev_b32_e32 v1, 10, v1
	v_cmp_eq_u32_e32 vcc_lo, 1, v12
	v_cmp_gt_u32_e64 s4, 40, v0
	s_movk_i32 s5, 0x160
	v_cmp_eq_u32_e64 s53, 32, v0
	v_mad_u32_u24 v43, v0, s5, 0x17d8
	v_mul_u32_u24_e32 v45, 0x810, v12
	v_lshlrev_b32_e64 v46, v0, 1
	v_bfm_b32 v47, v44, 0
	v_or_b32_e32 v56, 32, v44
	v_or3_b32 v40, v0, v1, v2
	v_mov_b32_e32 v57, 0x58
	s_and_b32 s55, vcc_lo, s4
	s_branch .LBB2_90
.LBB2_89:                               ;   in Loop: Header=BB2_90 Depth=1
	s_waitcnt lgkmcnt(0)
	s_waitcnt_vscnt null, 0x0
	s_barrier
	buffer_gl0_inv
	ds_read_b32 v0, v41 offset:16564
	s_waitcnt lgkmcnt(0)
	v_cmp_ne_u32_e64 s4, 0, v0
	s_and_b32 vcc_lo, exec_lo, s4
	s_cbranch_vccnz .LBB2_76
.LBB2_90:                               ; =>This Loop Header: Depth=1
                                        ;     Child Loop BB2_94 Depth 2
                                        ;     Child Loop BB2_585 Depth 2
	;; [unrolled: 1-line block ×3, first 2 shown]
	s_and_saveexec_b32 s4, s52
	s_cbranch_execz .LBB2_100
; %bb.91:                               ;   in Loop: Header=BB2_90 Depth=1
	ds_read_b32 v4, v41 offset:17068
	ds_read_b64 v[2:3], v41 offset:17040
	s_waitcnt lgkmcnt(1)
	v_ashrrev_i32_e32 v6, 31, v4
	s_waitcnt lgkmcnt(0)
	v_add_co_u32 v0, vcc_lo, v2, 1
	v_add_co_ci_u32_e64 v1, null, 0, v3, vcc_lo
	v_add_co_u32 v5, vcc_lo, v2, v4
	v_add_co_ci_u32_e64 v6, null, v3, v6, vcc_lo
	v_cmp_gt_u64_e32 vcc_lo, v[0:1], v[5:6]
	s_cbranch_vccnz .LBB2_100
; %bb.92:                               ;   in Loop: Header=BB2_90 Depth=1
	ds_read_u8 v5, v41 offset:17064
	s_movk_i32 s5, 0x4f0e
	s_movk_i32 s6, 0x4eda
	s_branch .LBB2_94
.LBB2_93:                               ;   in Loop: Header=BB2_94 Depth=2
	s_waitcnt lgkmcnt(0)
	v_ashrrev_i32_e32 v7, 31, v4
	v_add_co_u32 v0, vcc_lo, v0, 1
	v_add_co_ci_u32_e64 v1, null, 0, v1, vcc_lo
	v_add_co_u32 v6, vcc_lo, v2, v4
	v_add_co_ci_u32_e64 v7, null, v3, v7, vcc_lo
	s_add_i32 s5, s5, 64
	s_addk_i32 s6, 0x80
	v_cmp_le_u64_e32 vcc_lo, v[0:1], v[6:7]
	s_cbranch_vccz .LBB2_100
.LBB2_94:                               ;   Parent Loop BB2_90 Depth=1
                                        ; =>  This Inner Loop Header: Depth=2
	s_waitcnt lgkmcnt(0)
	v_cmp_ne_u32_sdwa s7, v5, v41 src0_sel:BYTE_0 src1_sel:DWORD
	s_and_b32 vcc_lo, exec_lo, s7
	s_cbranch_vccz .LBB2_99
; %bb.95:                               ;   in Loop: Header=BB2_94 Depth=2
	v_mov_b32_e32 v6, s6
	ds_read_u8 v6, v6
	s_waitcnt lgkmcnt(0)
	v_and_b32_e32 v6, 1, v6
	s_cbranch_execnz .LBB2_97
.LBB2_96:                               ;   in Loop: Header=BB2_94 Depth=2
	v_mov_b32_e32 v6, s5
	ds_read_u16 v6, v6
	s_waitcnt lgkmcnt(0)
	v_bfe_u32 v6, v6, 6, 1
.LBB2_97:                               ;   in Loop: Header=BB2_94 Depth=2
	v_cmp_eq_u32_e32 vcc_lo, 0, v6
	s_cbranch_vccnz .LBB2_93
; %bb.98:                               ;   in Loop: Header=BB2_94 Depth=2
	s_memrealtime s[8:9]
	ds_read_u8 v5, v41 offset:17064
	ds_read_b32 v2, v41 offset:16560
	ds_read_b64 v[6:7], v41 offset:16656
	v_and_b32_e32 v8, 63, v0
	v_lshlrev_b32_e32 v8, 4, v8
	s_waitcnt lgkmcnt(0)
	v_ashrrev_i32_e32 v3, 31, v2
	v_lshlrev_b64 v[3:4], 10, v[2:3]
	v_mov_b32_e32 v2, s8
	v_add_co_u32 v6, vcc_lo, v6, v3
	v_add_co_ci_u32_e64 v4, null, v7, v4, vcc_lo
	v_mov_b32_e32 v3, s9
	v_add_co_u32 v6, vcc_lo, v6, v8
	v_add_co_ci_u32_e64 v7, null, 0, v4, vcc_lo
	flat_store_dwordx4 v[6:7], v[0:3]
	ds_read_b64 v[2:3], v41 offset:17040
	ds_read_b32 v4, v41 offset:17068
	s_branch .LBB2_93
.LBB2_99:                               ;   in Loop: Header=BB2_94 Depth=2
                                        ; implicit-def: $vgpr6
	s_branch .LBB2_96
.LBB2_100:                              ;   in Loop: Header=BB2_90 Depth=1
	s_or_b32 exec_lo, exec_lo, s4
	ds_read_u16 v0, v41 offset:17066
	s_waitcnt lgkmcnt(0)
	v_cmp_gt_u32_sdwa s4, v0, v57 src0_sel:WORD_0 src1_sel:DWORD
	v_readfirstlane_b32 s64, v0
	s_and_b32 vcc_lo, exec_lo, s4
	s_mov_b32 s4, -1
	s_cbranch_vccz .LBB2_265
; %bb.101:                              ;   in Loop: Header=BB2_90 Depth=1
	s_and_b32 s65, 0xffff, s64
	s_cmpk_gt_u32 s65, 0x85
	s_cbranch_scc0 .LBB2_180
; %bb.102:                              ;   in Loop: Header=BB2_90 Depth=1
	s_cmpk_gt_u32 s65, 0x9b
	s_cbranch_scc0 .LBB2_142
; %bb.103:                              ;   in Loop: Header=BB2_90 Depth=1
	;; [unrolled: 3-line block ×6, first 2 shown]
	v_mov_b32_e32 v31, v40
	s_add_u32 s8, s36, 0x1000
	s_addc_u32 s9, s37, 0
	s_getpc_b64 s[16:17]
	s_add_u32 s16, s16, _Z50ncclDevFunc_AlltoAllPivot_RING_SIMPLE_Sum_i8_0_0_4v@rel32@lo+4
	s_addc_u32 s17, s17, _Z50ncclDevFunc_AlltoAllPivot_RING_SIMPLE_Sum_i8_0_0_4v@rel32@hi+12
	s_mov_b64 s[4:5], s[48:49]
	s_mov_b64 s[6:7], s[38:39]
	;; [unrolled: 1-line block ×3, first 2 shown]
	s_mov_b32 s12, s51
	s_mov_b32 s13, s50
	;; [unrolled: 1-line block ×3, first 2 shown]
	s_swappc_b64 s[30:31], s[16:17]
	s_mov_b32 s4, 0
.LBB2_108:                              ;   in Loop: Header=BB2_90 Depth=1
	s_andn2_b32 vcc_lo, exec_lo, s4
	s_cbranch_vccnz .LBB2_110
; %bb.109:                              ;   in Loop: Header=BB2_90 Depth=1
	v_mov_b32_e32 v31, v40
	s_add_u32 s8, s36, 0x1000
	s_addc_u32 s9, s37, 0
	s_getpc_b64 s[16:17]
	s_add_u32 s16, s16, _Z45ncclDevFunc_SendRecv_RING_SIMPLE_Sum_i8_0_0_4v@rel32@lo+4
	s_addc_u32 s17, s17, _Z45ncclDevFunc_SendRecv_RING_SIMPLE_Sum_i8_0_0_4v@rel32@hi+12
	s_mov_b64 s[4:5], s[48:49]
	s_mov_b64 s[6:7], s[38:39]
	;; [unrolled: 1-line block ×3, first 2 shown]
	s_mov_b32 s12, s51
	s_mov_b32 s13, s50
	s_mov_b32 s14, s33
	s_swappc_b64 s[30:31], s[16:17]
.LBB2_110:                              ;   in Loop: Header=BB2_90 Depth=1
	s_mov_b32 s4, 0
.LBB2_111:                              ;   in Loop: Header=BB2_90 Depth=1
	s_andn2_b32 vcc_lo, exec_lo, s4
	s_cbranch_vccnz .LBB2_116
; %bb.112:                              ;   in Loop: Header=BB2_90 Depth=1
	s_cmpk_lg_i32 s65, 0xad
	s_mov_b32 s4, -1
	s_cbranch_scc0 .LBB2_114
; %bb.113:                              ;   in Loop: Header=BB2_90 Depth=1
	v_mov_b32_e32 v31, v40
	s_add_u32 s8, s36, 0x1000
	s_addc_u32 s9, s37, 0
	s_getpc_b64 s[16:17]
	s_add_u32 s16, s16, _Z54ncclDevFunc_AllReduce_RING_SIMPLE_SumPostDiv_u64_0_0_4v@rel32@lo+4
	s_addc_u32 s17, s17, _Z54ncclDevFunc_AllReduce_RING_SIMPLE_SumPostDiv_u64_0_0_4v@rel32@hi+12
	s_mov_b64 s[4:5], s[48:49]
	s_mov_b64 s[6:7], s[38:39]
	;; [unrolled: 1-line block ×3, first 2 shown]
	s_mov_b32 s12, s51
	s_mov_b32 s13, s50
	;; [unrolled: 1-line block ×3, first 2 shown]
	s_swappc_b64 s[30:31], s[16:17]
	s_mov_b32 s4, 0
.LBB2_114:                              ;   in Loop: Header=BB2_90 Depth=1
	s_andn2_b32 vcc_lo, exec_lo, s4
	s_cbranch_vccnz .LBB2_116
; %bb.115:                              ;   in Loop: Header=BB2_90 Depth=1
	v_mov_b32_e32 v31, v40
	s_add_u32 s8, s36, 0x1000
	s_addc_u32 s9, s37, 0
	s_getpc_b64 s[16:17]
	s_add_u32 s16, s16, _Z54ncclDevFunc_AllReduce_RING_SIMPLE_SumPostDiv_u32_0_0_4v@rel32@lo+4
	s_addc_u32 s17, s17, _Z54ncclDevFunc_AllReduce_RING_SIMPLE_SumPostDiv_u32_0_0_4v@rel32@hi+12
	s_mov_b64 s[4:5], s[48:49]
	s_mov_b64 s[6:7], s[38:39]
	;; [unrolled: 1-line block ×3, first 2 shown]
	s_mov_b32 s12, s51
	s_mov_b32 s13, s50
	;; [unrolled: 1-line block ×3, first 2 shown]
	s_swappc_b64 s[30:31], s[16:17]
.LBB2_116:                              ;   in Loop: Header=BB2_90 Depth=1
	s_mov_b32 s4, 0
.LBB2_117:                              ;   in Loop: Header=BB2_90 Depth=1
	s_andn2_b32 vcc_lo, exec_lo, s4
	s_cbranch_vccnz .LBB2_125
; %bb.118:                              ;   in Loop: Header=BB2_90 Depth=1
	s_cmpk_gt_u32 s65, 0xa9
	s_mov_b32 s4, -1
	s_cbranch_scc0 .LBB2_120
; %bb.119:                              ;   in Loop: Header=BB2_90 Depth=1
	v_mov_b32_e32 v31, v40
	s_add_u32 s8, s36, 0x1000
	s_addc_u32 s9, s37, 0
	s_getpc_b64 s[16:17]
	s_add_u32 s16, s16, _Z53ncclDevFunc_AllReduce_RING_SIMPLE_SumPostDiv_u8_0_0_4v@rel32@lo+4
	s_addc_u32 s17, s17, _Z53ncclDevFunc_AllReduce_RING_SIMPLE_SumPostDiv_u8_0_0_4v@rel32@hi+12
	s_mov_b64 s[4:5], s[48:49]
	s_mov_b64 s[6:7], s[38:39]
	;; [unrolled: 1-line block ×3, first 2 shown]
	s_mov_b32 s12, s51
	s_mov_b32 s13, s50
	;; [unrolled: 1-line block ×3, first 2 shown]
	s_swappc_b64 s[30:31], s[16:17]
	s_mov_b32 s4, 0
.LBB2_120:                              ;   in Loop: Header=BB2_90 Depth=1
	s_andn2_b32 vcc_lo, exec_lo, s4
	s_cbranch_vccnz .LBB2_125
; %bb.121:                              ;   in Loop: Header=BB2_90 Depth=1
	s_cmpk_lg_i32 s65, 0xa7
	s_mov_b32 s4, -1
	s_cbranch_scc0 .LBB2_123
; %bb.122:                              ;   in Loop: Header=BB2_90 Depth=1
	v_mov_b32_e32 v31, v40
	s_add_u32 s8, s36, 0x1000
	s_addc_u32 s9, s37, 0
	s_getpc_b64 s[16:17]
	s_add_u32 s16, s16, _Z56ncclDevFunc_AllReduce_RING_SIMPLE_PreMulSum_f8e5m2_0_0_4v@rel32@lo+4
	s_addc_u32 s17, s17, _Z56ncclDevFunc_AllReduce_RING_SIMPLE_PreMulSum_f8e5m2_0_0_4v@rel32@hi+12
	s_mov_b64 s[4:5], s[48:49]
	s_mov_b64 s[6:7], s[38:39]
	;; [unrolled: 1-line block ×3, first 2 shown]
	s_mov_b32 s12, s51
	s_mov_b32 s13, s50
	s_mov_b32 s14, s33
	s_swappc_b64 s[30:31], s[16:17]
	s_mov_b32 s4, 0
.LBB2_123:                              ;   in Loop: Header=BB2_90 Depth=1
	s_andn2_b32 vcc_lo, exec_lo, s4
	s_cbranch_vccnz .LBB2_125
; %bb.124:                              ;   in Loop: Header=BB2_90 Depth=1
	v_mov_b32_e32 v31, v40
	s_add_u32 s8, s36, 0x1000
	s_addc_u32 s9, s37, 0
	s_getpc_b64 s[16:17]
	s_add_u32 s16, s16, _Z56ncclDevFunc_AllReduce_RING_SIMPLE_PreMulSum_f8e4m3_0_0_4v@rel32@lo+4
	s_addc_u32 s17, s17, _Z56ncclDevFunc_AllReduce_RING_SIMPLE_PreMulSum_f8e4m3_0_0_4v@rel32@hi+12
	s_mov_b64 s[4:5], s[48:49]
	s_mov_b64 s[6:7], s[38:39]
	;; [unrolled: 1-line block ×3, first 2 shown]
	s_mov_b32 s12, s51
	s_mov_b32 s13, s50
	;; [unrolled: 1-line block ×3, first 2 shown]
	s_swappc_b64 s[30:31], s[16:17]
.LBB2_125:                              ;   in Loop: Header=BB2_90 Depth=1
	s_mov_b32 s4, 0
.LBB2_126:                              ;   in Loop: Header=BB2_90 Depth=1
	s_andn2_b32 vcc_lo, exec_lo, s4
	s_cbranch_vccnz .LBB2_141
; %bb.127:                              ;   in Loop: Header=BB2_90 Depth=1
	s_cmpk_gt_u32 s65, 0xa0
	s_mov_b32 s4, -1
	s_cbranch_scc0 .LBB2_136
; %bb.128:                              ;   in Loop: Header=BB2_90 Depth=1
	s_cmpk_gt_u32 s65, 0xa3
	s_cbranch_scc0 .LBB2_130
; %bb.129:                              ;   in Loop: Header=BB2_90 Depth=1
	v_mov_b32_e32 v31, v40
	s_add_u32 s8, s36, 0x1000
	s_addc_u32 s9, s37, 0
	s_getpc_b64 s[16:17]
	s_add_u32 s16, s16, _Z54ncclDevFunc_AllReduce_RING_SIMPLE_PreMulSum_bf16_0_1_4v@rel32@lo+4
	s_addc_u32 s17, s17, _Z54ncclDevFunc_AllReduce_RING_SIMPLE_PreMulSum_bf16_0_1_4v@rel32@hi+12
	s_mov_b64 s[4:5], s[48:49]
	s_mov_b64 s[6:7], s[38:39]
	s_mov_b64 s[10:11], s[34:35]
	s_mov_b32 s12, s51
	s_mov_b32 s13, s50
	;; [unrolled: 1-line block ×3, first 2 shown]
	s_swappc_b64 s[30:31], s[16:17]
	s_mov_b32 s4, 0
.LBB2_130:                              ;   in Loop: Header=BB2_90 Depth=1
	s_andn2_b32 vcc_lo, exec_lo, s4
	s_cbranch_vccnz .LBB2_135
; %bb.131:                              ;   in Loop: Header=BB2_90 Depth=1
	s_cmpk_lg_i32 s65, 0xa1
	s_mov_b32 s4, -1
	s_cbranch_scc0 .LBB2_133
; %bb.132:                              ;   in Loop: Header=BB2_90 Depth=1
	v_mov_b32_e32 v31, v40
	s_add_u32 s8, s36, 0x1000
	s_addc_u32 s9, s37, 0
	s_getpc_b64 s[16:17]
	s_add_u32 s16, s16, _Z54ncclDevFunc_AllReduce_RING_SIMPLE_PreMulSum_bf16_0_0_4v@rel32@lo+4
	s_addc_u32 s17, s17, _Z54ncclDevFunc_AllReduce_RING_SIMPLE_PreMulSum_bf16_0_0_4v@rel32@hi+12
	s_mov_b64 s[4:5], s[48:49]
	s_mov_b64 s[6:7], s[38:39]
	;; [unrolled: 1-line block ×3, first 2 shown]
	s_mov_b32 s12, s51
	s_mov_b32 s13, s50
	;; [unrolled: 1-line block ×3, first 2 shown]
	s_swappc_b64 s[30:31], s[16:17]
	s_mov_b32 s4, 0
.LBB2_133:                              ;   in Loop: Header=BB2_90 Depth=1
	s_andn2_b32 vcc_lo, exec_lo, s4
	s_cbranch_vccnz .LBB2_135
; %bb.134:                              ;   in Loop: Header=BB2_90 Depth=1
	v_mov_b32_e32 v31, v40
	s_add_u32 s8, s36, 0x1000
	s_addc_u32 s9, s37, 0
	s_getpc_b64 s[16:17]
	s_add_u32 s16, s16, _Z53ncclDevFunc_AllReduce_RING_SIMPLE_PreMulSum_f64_0_0_4v@rel32@lo+4
	s_addc_u32 s17, s17, _Z53ncclDevFunc_AllReduce_RING_SIMPLE_PreMulSum_f64_0_0_4v@rel32@hi+12
	s_mov_b64 s[4:5], s[48:49]
	s_mov_b64 s[6:7], s[38:39]
	;; [unrolled: 1-line block ×3, first 2 shown]
	s_mov_b32 s12, s51
	s_mov_b32 s13, s50
	;; [unrolled: 1-line block ×3, first 2 shown]
	s_swappc_b64 s[30:31], s[16:17]
.LBB2_135:                              ;   in Loop: Header=BB2_90 Depth=1
	s_mov_b32 s4, 0
.LBB2_136:                              ;   in Loop: Header=BB2_90 Depth=1
	s_andn2_b32 vcc_lo, exec_lo, s4
	s_cbranch_vccnz .LBB2_141
; %bb.137:                              ;   in Loop: Header=BB2_90 Depth=1
	s_cmpk_gt_u32 s65, 0x9d
	s_mov_b32 s4, -1
	s_cbranch_scc0 .LBB2_139
; %bb.138:                              ;   in Loop: Header=BB2_90 Depth=1
	v_mov_b32_e32 v31, v40
	s_add_u32 s8, s36, 0x1000
	s_addc_u32 s9, s37, 0
	s_getpc_b64 s[16:17]
	s_add_u32 s16, s16, _Z53ncclDevFunc_AllReduce_RING_SIMPLE_PreMulSum_f32_0_0_4v@rel32@lo+4
	s_addc_u32 s17, s17, _Z53ncclDevFunc_AllReduce_RING_SIMPLE_PreMulSum_f32_0_0_4v@rel32@hi+12
	s_mov_b64 s[4:5], s[48:49]
	s_mov_b64 s[6:7], s[38:39]
	;; [unrolled: 1-line block ×3, first 2 shown]
	s_mov_b32 s12, s51
	s_mov_b32 s13, s50
	;; [unrolled: 1-line block ×3, first 2 shown]
	s_swappc_b64 s[30:31], s[16:17]
	s_mov_b32 s4, 0
.LBB2_139:                              ;   in Loop: Header=BB2_90 Depth=1
	s_andn2_b32 vcc_lo, exec_lo, s4
	s_cbranch_vccnz .LBB2_141
; %bb.140:                              ;   in Loop: Header=BB2_90 Depth=1
	v_mov_b32_e32 v31, v40
	s_add_u32 s8, s36, 0x1000
	s_addc_u32 s9, s37, 0
	s_getpc_b64 s[16:17]
	s_add_u32 s16, s16, _Z53ncclDevFunc_AllReduce_RING_SIMPLE_PreMulSum_f16_0_0_4v@rel32@lo+4
	s_addc_u32 s17, s17, _Z53ncclDevFunc_AllReduce_RING_SIMPLE_PreMulSum_f16_0_0_4v@rel32@hi+12
	s_mov_b64 s[4:5], s[48:49]
	s_mov_b64 s[6:7], s[38:39]
	;; [unrolled: 1-line block ×3, first 2 shown]
	s_mov_b32 s12, s51
	s_mov_b32 s13, s50
	s_mov_b32 s14, s33
	s_swappc_b64 s[30:31], s[16:17]
.LBB2_141:                              ;   in Loop: Header=BB2_90 Depth=1
	s_mov_b32 s4, 0
.LBB2_142:                              ;   in Loop: Header=BB2_90 Depth=1
	s_andn2_b32 vcc_lo, exec_lo, s4
	s_cbranch_vccnz .LBB2_179
; %bb.143:                              ;   in Loop: Header=BB2_90 Depth=1
	s_cmpk_gt_u32 s65, 0x90
	s_mov_b32 s4, -1
	s_cbranch_scc0 .LBB2_160
; %bb.144:                              ;   in Loop: Header=BB2_90 Depth=1
	s_cmpk_gt_u32 s65, 0x95
	s_cbranch_scc0 .LBB2_154
; %bb.145:                              ;   in Loop: Header=BB2_90 Depth=1
	s_cmpk_gt_u32 s65, 0x98
	s_cbranch_scc0 .LBB2_151
; %bb.146:                              ;   in Loop: Header=BB2_90 Depth=1
	s_cmpk_lg_i32 s65, 0x99
	s_cbranch_scc0 .LBB2_148
; %bb.147:                              ;   in Loop: Header=BB2_90 Depth=1
	v_mov_b32_e32 v31, v40
	s_add_u32 s8, s36, 0x1000
	s_addc_u32 s9, s37, 0
	s_getpc_b64 s[16:17]
	s_add_u32 s16, s16, _Z53ncclDevFunc_AllReduce_RING_SIMPLE_PreMulSum_u64_0_0_4v@rel32@lo+4
	s_addc_u32 s17, s17, _Z53ncclDevFunc_AllReduce_RING_SIMPLE_PreMulSum_u64_0_0_4v@rel32@hi+12
	s_mov_b64 s[4:5], s[48:49]
	s_mov_b64 s[6:7], s[38:39]
	;; [unrolled: 1-line block ×3, first 2 shown]
	s_mov_b32 s12, s51
	s_mov_b32 s13, s50
	;; [unrolled: 1-line block ×3, first 2 shown]
	s_swappc_b64 s[30:31], s[16:17]
	s_mov_b32 s4, 0
.LBB2_148:                              ;   in Loop: Header=BB2_90 Depth=1
	s_andn2_b32 vcc_lo, exec_lo, s4
	s_cbranch_vccnz .LBB2_150
; %bb.149:                              ;   in Loop: Header=BB2_90 Depth=1
	v_mov_b32_e32 v31, v40
	s_add_u32 s8, s36, 0x1000
	s_addc_u32 s9, s37, 0
	s_getpc_b64 s[16:17]
	s_add_u32 s16, s16, _Z53ncclDevFunc_AllReduce_RING_SIMPLE_PreMulSum_u32_0_0_4v@rel32@lo+4
	s_addc_u32 s17, s17, _Z53ncclDevFunc_AllReduce_RING_SIMPLE_PreMulSum_u32_0_0_4v@rel32@hi+12
	s_mov_b64 s[4:5], s[48:49]
	s_mov_b64 s[6:7], s[38:39]
	s_mov_b64 s[10:11], s[34:35]
	s_mov_b32 s12, s51
	s_mov_b32 s13, s50
	;; [unrolled: 1-line block ×3, first 2 shown]
	s_swappc_b64 s[30:31], s[16:17]
.LBB2_150:                              ;   in Loop: Header=BB2_90 Depth=1
	s_mov_b32 s4, 0
.LBB2_151:                              ;   in Loop: Header=BB2_90 Depth=1
	s_andn2_b32 vcc_lo, exec_lo, s4
	s_cbranch_vccnz .LBB2_153
; %bb.152:                              ;   in Loop: Header=BB2_90 Depth=1
	v_mov_b32_e32 v31, v40
	s_add_u32 s8, s36, 0x1000
	s_addc_u32 s9, s37, 0
	s_getpc_b64 s[16:17]
	s_add_u32 s16, s16, _Z52ncclDevFunc_AllReduce_RING_SIMPLE_PreMulSum_u8_0_0_4v@rel32@lo+4
	s_addc_u32 s17, s17, _Z52ncclDevFunc_AllReduce_RING_SIMPLE_PreMulSum_u8_0_0_4v@rel32@hi+12
	s_mov_b64 s[4:5], s[48:49]
	s_mov_b64 s[6:7], s[38:39]
	;; [unrolled: 1-line block ×3, first 2 shown]
	s_mov_b32 s12, s51
	s_mov_b32 s13, s50
	;; [unrolled: 1-line block ×3, first 2 shown]
	s_swappc_b64 s[30:31], s[16:17]
.LBB2_153:                              ;   in Loop: Header=BB2_90 Depth=1
	s_mov_b32 s4, 0
.LBB2_154:                              ;   in Loop: Header=BB2_90 Depth=1
	s_andn2_b32 vcc_lo, exec_lo, s4
	s_cbranch_vccnz .LBB2_159
; %bb.155:                              ;   in Loop: Header=BB2_90 Depth=1
	s_cmpk_gt_u32 s65, 0x93
	s_mov_b32 s4, -1
	s_cbranch_scc0 .LBB2_157
; %bb.156:                              ;   in Loop: Header=BB2_90 Depth=1
	v_mov_b32_e32 v31, v40
	s_add_u32 s8, s36, 0x1000
	s_addc_u32 s9, s37, 0
	s_getpc_b64 s[16:17]
	s_add_u32 s16, s16, _Z53ncclDevFunc_AllReduce_RING_SIMPLE_MinMax_f8e5m2_0_0_4v@rel32@lo+4
	s_addc_u32 s17, s17, _Z53ncclDevFunc_AllReduce_RING_SIMPLE_MinMax_f8e5m2_0_0_4v@rel32@hi+12
	s_mov_b64 s[4:5], s[48:49]
	s_mov_b64 s[6:7], s[38:39]
	;; [unrolled: 1-line block ×3, first 2 shown]
	s_mov_b32 s12, s51
	s_mov_b32 s13, s50
	;; [unrolled: 1-line block ×3, first 2 shown]
	s_swappc_b64 s[30:31], s[16:17]
	s_mov_b32 s4, 0
.LBB2_157:                              ;   in Loop: Header=BB2_90 Depth=1
	s_andn2_b32 vcc_lo, exec_lo, s4
	s_cbranch_vccnz .LBB2_159
; %bb.158:                              ;   in Loop: Header=BB2_90 Depth=1
	v_mov_b32_e32 v31, v40
	s_add_u32 s8, s36, 0x1000
	s_addc_u32 s9, s37, 0
	s_getpc_b64 s[16:17]
	s_add_u32 s16, s16, _Z53ncclDevFunc_AllReduce_RING_SIMPLE_MinMax_f8e4m3_0_0_4v@rel32@lo+4
	s_addc_u32 s17, s17, _Z53ncclDevFunc_AllReduce_RING_SIMPLE_MinMax_f8e4m3_0_0_4v@rel32@hi+12
	s_mov_b64 s[4:5], s[48:49]
	s_mov_b64 s[6:7], s[38:39]
	;; [unrolled: 1-line block ×3, first 2 shown]
	s_mov_b32 s12, s51
	s_mov_b32 s13, s50
	;; [unrolled: 1-line block ×3, first 2 shown]
	s_swappc_b64 s[30:31], s[16:17]
.LBB2_159:                              ;   in Loop: Header=BB2_90 Depth=1
	s_mov_b32 s4, 0
.LBB2_160:                              ;   in Loop: Header=BB2_90 Depth=1
	s_andn2_b32 vcc_lo, exec_lo, s4
	s_cbranch_vccnz .LBB2_179
; %bb.161:                              ;   in Loop: Header=BB2_90 Depth=1
	s_cmpk_gt_u32 s65, 0x8a
	s_mov_b32 s4, -1
	s_cbranch_scc0 .LBB2_174
; %bb.162:                              ;   in Loop: Header=BB2_90 Depth=1
	s_cmpk_gt_u32 s65, 0x8d
	s_cbranch_scc0 .LBB2_168
; %bb.163:                              ;   in Loop: Header=BB2_90 Depth=1
	s_cmpk_eq_i32 s65, 0x90
	s_cbranch_scc1 .LBB2_165
; %bb.164:                              ;   in Loop: Header=BB2_90 Depth=1
	v_mov_b32_e32 v31, v40
	s_add_u32 s8, s36, 0x1000
	s_addc_u32 s9, s37, 0
	s_getpc_b64 s[16:17]
	s_add_u32 s16, s16, _Z51ncclDevFunc_AllReduce_RING_SIMPLE_MinMax_bf16_0_0_4v@rel32@lo+4
	s_addc_u32 s17, s17, _Z51ncclDevFunc_AllReduce_RING_SIMPLE_MinMax_bf16_0_0_4v@rel32@hi+12
	s_mov_b64 s[4:5], s[48:49]
	s_mov_b64 s[6:7], s[38:39]
	;; [unrolled: 1-line block ×3, first 2 shown]
	s_mov_b32 s12, s51
	s_mov_b32 s13, s50
	;; [unrolled: 1-line block ×3, first 2 shown]
	s_swappc_b64 s[30:31], s[16:17]
	s_mov_b32 s4, 0
.LBB2_165:                              ;   in Loop: Header=BB2_90 Depth=1
	s_andn2_b32 vcc_lo, exec_lo, s4
	s_cbranch_vccnz .LBB2_167
; %bb.166:                              ;   in Loop: Header=BB2_90 Depth=1
	v_mov_b32_e32 v31, v40
	s_add_u32 s8, s36, 0x1000
	s_addc_u32 s9, s37, 0
	s_getpc_b64 s[16:17]
	s_add_u32 s16, s16, _Z51ncclDevFunc_AllReduce_RING_SIMPLE_MinMax_bf16_0_1_4v@rel32@lo+4
	s_addc_u32 s17, s17, _Z51ncclDevFunc_AllReduce_RING_SIMPLE_MinMax_bf16_0_1_4v@rel32@hi+12
	s_mov_b64 s[4:5], s[48:49]
	s_mov_b64 s[6:7], s[38:39]
	;; [unrolled: 1-line block ×3, first 2 shown]
	s_mov_b32 s12, s51
	s_mov_b32 s13, s50
	;; [unrolled: 1-line block ×3, first 2 shown]
	s_swappc_b64 s[30:31], s[16:17]
.LBB2_167:                              ;   in Loop: Header=BB2_90 Depth=1
	s_mov_b32 s4, 0
.LBB2_168:                              ;   in Loop: Header=BB2_90 Depth=1
	s_andn2_b32 vcc_lo, exec_lo, s4
	s_cbranch_vccnz .LBB2_173
; %bb.169:                              ;   in Loop: Header=BB2_90 Depth=1
	s_cmpk_lg_i32 s65, 0x8b
	s_mov_b32 s4, -1
	s_cbranch_scc0 .LBB2_171
; %bb.170:                              ;   in Loop: Header=BB2_90 Depth=1
	v_mov_b32_e32 v31, v40
	s_add_u32 s8, s36, 0x1000
	s_addc_u32 s9, s37, 0
	s_getpc_b64 s[16:17]
	s_add_u32 s16, s16, _Z50ncclDevFunc_AllReduce_RING_SIMPLE_MinMax_f64_0_0_4v@rel32@lo+4
	s_addc_u32 s17, s17, _Z50ncclDevFunc_AllReduce_RING_SIMPLE_MinMax_f64_0_0_4v@rel32@hi+12
	s_mov_b64 s[4:5], s[48:49]
	s_mov_b64 s[6:7], s[38:39]
	;; [unrolled: 1-line block ×3, first 2 shown]
	s_mov_b32 s12, s51
	s_mov_b32 s13, s50
	;; [unrolled: 1-line block ×3, first 2 shown]
	s_swappc_b64 s[30:31], s[16:17]
	s_mov_b32 s4, 0
.LBB2_171:                              ;   in Loop: Header=BB2_90 Depth=1
	s_andn2_b32 vcc_lo, exec_lo, s4
	s_cbranch_vccnz .LBB2_173
; %bb.172:                              ;   in Loop: Header=BB2_90 Depth=1
	v_mov_b32_e32 v31, v40
	s_add_u32 s8, s36, 0x1000
	s_addc_u32 s9, s37, 0
	s_getpc_b64 s[16:17]
	s_add_u32 s16, s16, _Z50ncclDevFunc_AllReduce_RING_SIMPLE_MinMax_f32_0_0_4v@rel32@lo+4
	s_addc_u32 s17, s17, _Z50ncclDevFunc_AllReduce_RING_SIMPLE_MinMax_f32_0_0_4v@rel32@hi+12
	s_mov_b64 s[4:5], s[48:49]
	s_mov_b64 s[6:7], s[38:39]
	;; [unrolled: 1-line block ×3, first 2 shown]
	s_mov_b32 s12, s51
	s_mov_b32 s13, s50
	;; [unrolled: 1-line block ×3, first 2 shown]
	s_swappc_b64 s[30:31], s[16:17]
.LBB2_173:                              ;   in Loop: Header=BB2_90 Depth=1
	s_mov_b32 s4, 0
.LBB2_174:                              ;   in Loop: Header=BB2_90 Depth=1
	s_andn2_b32 vcc_lo, exec_lo, s4
	s_cbranch_vccnz .LBB2_179
; %bb.175:                              ;   in Loop: Header=BB2_90 Depth=1
	s_cmpk_gt_u32 s65, 0x87
	s_mov_b32 s4, -1
	s_cbranch_scc0 .LBB2_177
; %bb.176:                              ;   in Loop: Header=BB2_90 Depth=1
	v_mov_b32_e32 v31, v40
	s_add_u32 s8, s36, 0x1000
	s_addc_u32 s9, s37, 0
	s_getpc_b64 s[16:17]
	s_add_u32 s16, s16, _Z50ncclDevFunc_AllReduce_RING_SIMPLE_MinMax_f16_0_0_4v@rel32@lo+4
	s_addc_u32 s17, s17, _Z50ncclDevFunc_AllReduce_RING_SIMPLE_MinMax_f16_0_0_4v@rel32@hi+12
	s_mov_b64 s[4:5], s[48:49]
	s_mov_b64 s[6:7], s[38:39]
	;; [unrolled: 1-line block ×3, first 2 shown]
	s_mov_b32 s12, s51
	s_mov_b32 s13, s50
	;; [unrolled: 1-line block ×3, first 2 shown]
	s_swappc_b64 s[30:31], s[16:17]
	s_mov_b32 s4, 0
.LBB2_177:                              ;   in Loop: Header=BB2_90 Depth=1
	s_andn2_b32 vcc_lo, exec_lo, s4
	s_cbranch_vccnz .LBB2_179
; %bb.178:                              ;   in Loop: Header=BB2_90 Depth=1
	v_mov_b32_e32 v31, v40
	s_add_u32 s8, s36, 0x1000
	s_addc_u32 s9, s37, 0
	s_getpc_b64 s[16:17]
	s_add_u32 s16, s16, _Z50ncclDevFunc_AllReduce_RING_SIMPLE_MinMax_u64_0_0_4v@rel32@lo+4
	s_addc_u32 s17, s17, _Z50ncclDevFunc_AllReduce_RING_SIMPLE_MinMax_u64_0_0_4v@rel32@hi+12
	s_mov_b64 s[4:5], s[48:49]
	s_mov_b64 s[6:7], s[38:39]
	s_mov_b64 s[10:11], s[34:35]
	s_mov_b32 s12, s51
	s_mov_b32 s13, s50
	;; [unrolled: 1-line block ×3, first 2 shown]
	s_swappc_b64 s[30:31], s[16:17]
.LBB2_179:                              ;   in Loop: Header=BB2_90 Depth=1
	s_mov_b32 s4, 0
.LBB2_180:                              ;   in Loop: Header=BB2_90 Depth=1
	s_andn2_b32 vcc_lo, exec_lo, s4
	s_cbranch_vccnz .LBB2_264
; %bb.181:                              ;   in Loop: Header=BB2_90 Depth=1
	s_cmpk_gt_u32 s65, 0x6e
	s_mov_b32 s4, -1
	s_cbranch_scc0 .LBB2_223
; %bb.182:                              ;   in Loop: Header=BB2_90 Depth=1
	s_cmpk_gt_u32 s65, 0x79
	s_cbranch_scc0 .LBB2_202
; %bb.183:                              ;   in Loop: Header=BB2_90 Depth=1
	s_cmpk_gt_u32 s65, 0x7f
	;; [unrolled: 3-line block ×3, first 2 shown]
	s_cbranch_scc0 .LBB2_190
; %bb.185:                              ;   in Loop: Header=BB2_90 Depth=1
	s_cmpk_lg_i32 s65, 0x83
	s_cbranch_scc0 .LBB2_187
; %bb.186:                              ;   in Loop: Header=BB2_90 Depth=1
	v_mov_b32_e32 v31, v40
	s_add_u32 s8, s36, 0x1000
	s_addc_u32 s9, s37, 0
	s_getpc_b64 s[16:17]
	s_add_u32 s16, s16, _Z50ncclDevFunc_AllReduce_RING_SIMPLE_MinMax_u32_0_0_4v@rel32@lo+4
	s_addc_u32 s17, s17, _Z50ncclDevFunc_AllReduce_RING_SIMPLE_MinMax_u32_0_0_4v@rel32@hi+12
	s_mov_b64 s[4:5], s[48:49]
	s_mov_b64 s[6:7], s[38:39]
	;; [unrolled: 1-line block ×3, first 2 shown]
	s_mov_b32 s12, s51
	s_mov_b32 s13, s50
	;; [unrolled: 1-line block ×3, first 2 shown]
	s_swappc_b64 s[30:31], s[16:17]
	s_mov_b32 s4, 0
.LBB2_187:                              ;   in Loop: Header=BB2_90 Depth=1
	s_andn2_b32 vcc_lo, exec_lo, s4
	s_cbranch_vccnz .LBB2_189
; %bb.188:                              ;   in Loop: Header=BB2_90 Depth=1
	v_mov_b32_e32 v31, v40
	s_add_u32 s8, s36, 0x1000
	s_addc_u32 s9, s37, 0
	s_getpc_b64 s[16:17]
	s_add_u32 s16, s16, _Z49ncclDevFunc_AllReduce_RING_SIMPLE_MinMax_u8_0_0_4v@rel32@lo+4
	s_addc_u32 s17, s17, _Z49ncclDevFunc_AllReduce_RING_SIMPLE_MinMax_u8_0_0_4v@rel32@hi+12
	s_mov_b64 s[4:5], s[48:49]
	s_mov_b64 s[6:7], s[38:39]
	s_mov_b64 s[10:11], s[34:35]
	s_mov_b32 s12, s51
	s_mov_b32 s13, s50
	;; [unrolled: 1-line block ×3, first 2 shown]
	s_swappc_b64 s[30:31], s[16:17]
.LBB2_189:                              ;   in Loop: Header=BB2_90 Depth=1
	s_mov_b32 s4, 0
.LBB2_190:                              ;   in Loop: Header=BB2_90 Depth=1
	s_andn2_b32 vcc_lo, exec_lo, s4
	s_cbranch_vccnz .LBB2_192
; %bb.191:                              ;   in Loop: Header=BB2_90 Depth=1
	v_mov_b32_e32 v31, v40
	s_add_u32 s8, s36, 0x1000
	s_addc_u32 s9, s37, 0
	s_getpc_b64 s[16:17]
	s_add_u32 s16, s16, _Z51ncclDevFunc_AllReduce_RING_SIMPLE_Prod_f8e5m2_0_0_4v@rel32@lo+4
	s_addc_u32 s17, s17, _Z51ncclDevFunc_AllReduce_RING_SIMPLE_Prod_f8e5m2_0_0_4v@rel32@hi+12
	s_mov_b64 s[4:5], s[48:49]
	s_mov_b64 s[6:7], s[38:39]
	;; [unrolled: 1-line block ×3, first 2 shown]
	s_mov_b32 s12, s51
	s_mov_b32 s13, s50
	;; [unrolled: 1-line block ×3, first 2 shown]
	s_swappc_b64 s[30:31], s[16:17]
.LBB2_192:                              ;   in Loop: Header=BB2_90 Depth=1
	s_mov_b32 s4, 0
.LBB2_193:                              ;   in Loop: Header=BB2_90 Depth=1
	s_andn2_b32 vcc_lo, exec_lo, s4
	s_cbranch_vccnz .LBB2_201
; %bb.194:                              ;   in Loop: Header=BB2_90 Depth=1
	s_cmpk_gt_u32 s65, 0x7c
	s_mov_b32 s4, -1
	s_cbranch_scc0 .LBB2_196
; %bb.195:                              ;   in Loop: Header=BB2_90 Depth=1
	v_mov_b32_e32 v31, v40
	s_add_u32 s8, s36, 0x1000
	s_addc_u32 s9, s37, 0
	s_getpc_b64 s[16:17]
	s_add_u32 s16, s16, _Z51ncclDevFunc_AllReduce_RING_SIMPLE_Prod_f8e4m3_0_0_4v@rel32@lo+4
	s_addc_u32 s17, s17, _Z51ncclDevFunc_AllReduce_RING_SIMPLE_Prod_f8e4m3_0_0_4v@rel32@hi+12
	s_mov_b64 s[4:5], s[48:49]
	s_mov_b64 s[6:7], s[38:39]
	;; [unrolled: 1-line block ×3, first 2 shown]
	s_mov_b32 s12, s51
	s_mov_b32 s13, s50
	;; [unrolled: 1-line block ×3, first 2 shown]
	s_swappc_b64 s[30:31], s[16:17]
	s_mov_b32 s4, 0
.LBB2_196:                              ;   in Loop: Header=BB2_90 Depth=1
	s_andn2_b32 vcc_lo, exec_lo, s4
	s_cbranch_vccnz .LBB2_201
; %bb.197:                              ;   in Loop: Header=BB2_90 Depth=1
	s_cmpk_eq_i32 s65, 0x7c
	s_mov_b32 s4, -1
	s_cbranch_scc1 .LBB2_199
; %bb.198:                              ;   in Loop: Header=BB2_90 Depth=1
	v_mov_b32_e32 v31, v40
	s_add_u32 s8, s36, 0x1000
	s_addc_u32 s9, s37, 0
	s_getpc_b64 s[16:17]
	s_add_u32 s16, s16, _Z49ncclDevFunc_AllReduce_RING_SIMPLE_Prod_bf16_0_0_4v@rel32@lo+4
	s_addc_u32 s17, s17, _Z49ncclDevFunc_AllReduce_RING_SIMPLE_Prod_bf16_0_0_4v@rel32@hi+12
	s_mov_b64 s[4:5], s[48:49]
	s_mov_b64 s[6:7], s[38:39]
	;; [unrolled: 1-line block ×3, first 2 shown]
	s_mov_b32 s12, s51
	s_mov_b32 s13, s50
	;; [unrolled: 1-line block ×3, first 2 shown]
	s_swappc_b64 s[30:31], s[16:17]
	s_mov_b32 s4, 0
.LBB2_199:                              ;   in Loop: Header=BB2_90 Depth=1
	s_andn2_b32 vcc_lo, exec_lo, s4
	s_cbranch_vccnz .LBB2_201
; %bb.200:                              ;   in Loop: Header=BB2_90 Depth=1
	v_mov_b32_e32 v31, v40
	s_add_u32 s8, s36, 0x1000
	s_addc_u32 s9, s37, 0
	s_getpc_b64 s[16:17]
	s_add_u32 s16, s16, _Z49ncclDevFunc_AllReduce_RING_SIMPLE_Prod_bf16_0_1_4v@rel32@lo+4
	s_addc_u32 s17, s17, _Z49ncclDevFunc_AllReduce_RING_SIMPLE_Prod_bf16_0_1_4v@rel32@hi+12
	s_mov_b64 s[4:5], s[48:49]
	s_mov_b64 s[6:7], s[38:39]
	;; [unrolled: 1-line block ×3, first 2 shown]
	s_mov_b32 s12, s51
	s_mov_b32 s13, s50
	;; [unrolled: 1-line block ×3, first 2 shown]
	s_swappc_b64 s[30:31], s[16:17]
.LBB2_201:                              ;   in Loop: Header=BB2_90 Depth=1
	s_mov_b32 s4, 0
.LBB2_202:                              ;   in Loop: Header=BB2_90 Depth=1
	s_andn2_b32 vcc_lo, exec_lo, s4
	s_cbranch_vccnz .LBB2_222
; %bb.203:                              ;   in Loop: Header=BB2_90 Depth=1
	s_cmpk_gt_u32 s65, 0x73
	s_mov_b32 s4, -1
	s_cbranch_scc0 .LBB2_213
; %bb.204:                              ;   in Loop: Header=BB2_90 Depth=1
	s_cmpk_gt_u32 s65, 0x76
	s_cbranch_scc0 .LBB2_210
; %bb.205:                              ;   in Loop: Header=BB2_90 Depth=1
	s_cmpk_lg_i32 s65, 0x77
	s_cbranch_scc0 .LBB2_207
; %bb.206:                              ;   in Loop: Header=BB2_90 Depth=1
	v_mov_b32_e32 v31, v40
	s_add_u32 s8, s36, 0x1000
	s_addc_u32 s9, s37, 0
	s_getpc_b64 s[16:17]
	s_add_u32 s16, s16, _Z48ncclDevFunc_AllReduce_RING_SIMPLE_Prod_f64_0_0_4v@rel32@lo+4
	s_addc_u32 s17, s17, _Z48ncclDevFunc_AllReduce_RING_SIMPLE_Prod_f64_0_0_4v@rel32@hi+12
	s_mov_b64 s[4:5], s[48:49]
	s_mov_b64 s[6:7], s[38:39]
	;; [unrolled: 1-line block ×3, first 2 shown]
	s_mov_b32 s12, s51
	s_mov_b32 s13, s50
	;; [unrolled: 1-line block ×3, first 2 shown]
	s_swappc_b64 s[30:31], s[16:17]
	s_mov_b32 s4, 0
.LBB2_207:                              ;   in Loop: Header=BB2_90 Depth=1
	s_andn2_b32 vcc_lo, exec_lo, s4
	s_cbranch_vccnz .LBB2_209
; %bb.208:                              ;   in Loop: Header=BB2_90 Depth=1
	v_mov_b32_e32 v31, v40
	s_add_u32 s8, s36, 0x1000
	s_addc_u32 s9, s37, 0
	s_getpc_b64 s[16:17]
	s_add_u32 s16, s16, _Z48ncclDevFunc_AllReduce_RING_SIMPLE_Prod_f32_0_0_4v@rel32@lo+4
	s_addc_u32 s17, s17, _Z48ncclDevFunc_AllReduce_RING_SIMPLE_Prod_f32_0_0_4v@rel32@hi+12
	s_mov_b64 s[4:5], s[48:49]
	s_mov_b64 s[6:7], s[38:39]
	;; [unrolled: 1-line block ×3, first 2 shown]
	s_mov_b32 s12, s51
	s_mov_b32 s13, s50
	s_mov_b32 s14, s33
	s_swappc_b64 s[30:31], s[16:17]
.LBB2_209:                              ;   in Loop: Header=BB2_90 Depth=1
	s_mov_b32 s4, 0
.LBB2_210:                              ;   in Loop: Header=BB2_90 Depth=1
	s_andn2_b32 vcc_lo, exec_lo, s4
	s_cbranch_vccnz .LBB2_212
; %bb.211:                              ;   in Loop: Header=BB2_90 Depth=1
	v_mov_b32_e32 v31, v40
	s_add_u32 s8, s36, 0x1000
	s_addc_u32 s9, s37, 0
	s_getpc_b64 s[16:17]
	s_add_u32 s16, s16, _Z48ncclDevFunc_AllReduce_RING_SIMPLE_Prod_f16_0_0_4v@rel32@lo+4
	s_addc_u32 s17, s17, _Z48ncclDevFunc_AllReduce_RING_SIMPLE_Prod_f16_0_0_4v@rel32@hi+12
	s_mov_b64 s[4:5], s[48:49]
	s_mov_b64 s[6:7], s[38:39]
	;; [unrolled: 1-line block ×3, first 2 shown]
	s_mov_b32 s12, s51
	s_mov_b32 s13, s50
	;; [unrolled: 1-line block ×3, first 2 shown]
	s_swappc_b64 s[30:31], s[16:17]
.LBB2_212:                              ;   in Loop: Header=BB2_90 Depth=1
	s_mov_b32 s4, 0
.LBB2_213:                              ;   in Loop: Header=BB2_90 Depth=1
	s_andn2_b32 vcc_lo, exec_lo, s4
	s_cbranch_vccnz .LBB2_222
; %bb.214:                              ;   in Loop: Header=BB2_90 Depth=1
	s_cmpk_gt_u32 s65, 0x70
	s_mov_b32 s4, -1
	s_cbranch_scc0 .LBB2_220
; %bb.215:                              ;   in Loop: Header=BB2_90 Depth=1
	s_cmpk_lg_i32 s65, 0x71
	s_cbranch_scc0 .LBB2_217
; %bb.216:                              ;   in Loop: Header=BB2_90 Depth=1
	v_mov_b32_e32 v31, v40
	s_add_u32 s8, s36, 0x1000
	s_addc_u32 s9, s37, 0
	s_getpc_b64 s[16:17]
	s_add_u32 s16, s16, _Z48ncclDevFunc_AllReduce_RING_SIMPLE_Prod_u64_0_0_4v@rel32@lo+4
	s_addc_u32 s17, s17, _Z48ncclDevFunc_AllReduce_RING_SIMPLE_Prod_u64_0_0_4v@rel32@hi+12
	s_mov_b64 s[4:5], s[48:49]
	s_mov_b64 s[6:7], s[38:39]
	;; [unrolled: 1-line block ×3, first 2 shown]
	s_mov_b32 s12, s51
	s_mov_b32 s13, s50
	s_mov_b32 s14, s33
	s_swappc_b64 s[30:31], s[16:17]
	s_mov_b32 s4, 0
.LBB2_217:                              ;   in Loop: Header=BB2_90 Depth=1
	s_andn2_b32 vcc_lo, exec_lo, s4
	s_cbranch_vccnz .LBB2_219
; %bb.218:                              ;   in Loop: Header=BB2_90 Depth=1
	v_mov_b32_e32 v31, v40
	s_add_u32 s8, s36, 0x1000
	s_addc_u32 s9, s37, 0
	s_getpc_b64 s[16:17]
	s_add_u32 s16, s16, _Z48ncclDevFunc_AllReduce_RING_SIMPLE_Prod_u32_0_0_4v@rel32@lo+4
	s_addc_u32 s17, s17, _Z48ncclDevFunc_AllReduce_RING_SIMPLE_Prod_u32_0_0_4v@rel32@hi+12
	s_mov_b64 s[4:5], s[48:49]
	s_mov_b64 s[6:7], s[38:39]
	;; [unrolled: 1-line block ×3, first 2 shown]
	s_mov_b32 s12, s51
	s_mov_b32 s13, s50
	;; [unrolled: 1-line block ×3, first 2 shown]
	s_swappc_b64 s[30:31], s[16:17]
.LBB2_219:                              ;   in Loop: Header=BB2_90 Depth=1
	s_mov_b32 s4, 0
.LBB2_220:                              ;   in Loop: Header=BB2_90 Depth=1
	s_andn2_b32 vcc_lo, exec_lo, s4
	s_cbranch_vccnz .LBB2_222
; %bb.221:                              ;   in Loop: Header=BB2_90 Depth=1
	v_mov_b32_e32 v31, v40
	s_add_u32 s8, s36, 0x1000
	s_addc_u32 s9, s37, 0
	s_getpc_b64 s[16:17]
	s_add_u32 s16, s16, _Z47ncclDevFunc_AllReduce_RING_SIMPLE_Prod_u8_0_0_4v@rel32@lo+4
	s_addc_u32 s17, s17, _Z47ncclDevFunc_AllReduce_RING_SIMPLE_Prod_u8_0_0_4v@rel32@hi+12
	s_mov_b64 s[4:5], s[48:49]
	s_mov_b64 s[6:7], s[38:39]
	;; [unrolled: 1-line block ×3, first 2 shown]
	s_mov_b32 s12, s51
	s_mov_b32 s13, s50
	;; [unrolled: 1-line block ×3, first 2 shown]
	s_swappc_b64 s[30:31], s[16:17]
.LBB2_222:                              ;   in Loop: Header=BB2_90 Depth=1
	s_mov_b32 s4, 0
.LBB2_223:                              ;   in Loop: Header=BB2_90 Depth=1
	s_andn2_b32 vcc_lo, exec_lo, s4
	s_cbranch_vccnz .LBB2_264
; %bb.224:                              ;   in Loop: Header=BB2_90 Depth=1
	s_cmpk_gt_u32 s65, 0x63
	s_mov_b32 s4, -1
	s_cbranch_scc0 .LBB2_241
; %bb.225:                              ;   in Loop: Header=BB2_90 Depth=1
	s_cmpk_gt_u32 s65, 0x68
	s_cbranch_scc0 .LBB2_231
; %bb.226:                              ;   in Loop: Header=BB2_90 Depth=1
	s_cmpk_gt_u32 s65, 0x6b
	s_cbranch_scc0 .LBB2_228
; %bb.227:                              ;   in Loop: Header=BB2_90 Depth=1
	v_mov_b32_e32 v31, v40
	s_add_u32 s8, s36, 0x1000
	s_addc_u32 s9, s37, 0
	s_getpc_b64 s[16:17]
	s_add_u32 s16, s16, _Z50ncclDevFunc_AllReduce_RING_SIMPLE_Sum_f8e5m2_0_0_4v@rel32@lo+4
	s_addc_u32 s17, s17, _Z50ncclDevFunc_AllReduce_RING_SIMPLE_Sum_f8e5m2_0_0_4v@rel32@hi+12
	s_mov_b64 s[4:5], s[48:49]
	s_mov_b64 s[6:7], s[38:39]
	;; [unrolled: 1-line block ×3, first 2 shown]
	s_mov_b32 s12, s51
	s_mov_b32 s13, s50
	;; [unrolled: 1-line block ×3, first 2 shown]
	s_swappc_b64 s[30:31], s[16:17]
	s_mov_b32 s4, 0
.LBB2_228:                              ;   in Loop: Header=BB2_90 Depth=1
	s_andn2_b32 vcc_lo, exec_lo, s4
	s_cbranch_vccnz .LBB2_230
; %bb.229:                              ;   in Loop: Header=BB2_90 Depth=1
	v_mov_b32_e32 v31, v40
	s_add_u32 s8, s36, 0x1000
	s_addc_u32 s9, s37, 0
	s_getpc_b64 s[16:17]
	s_add_u32 s16, s16, _Z50ncclDevFunc_AllReduce_RING_SIMPLE_Sum_f8e4m3_0_0_4v@rel32@lo+4
	s_addc_u32 s17, s17, _Z50ncclDevFunc_AllReduce_RING_SIMPLE_Sum_f8e4m3_0_0_4v@rel32@hi+12
	s_mov_b64 s[4:5], s[48:49]
	s_mov_b64 s[6:7], s[38:39]
	;; [unrolled: 1-line block ×3, first 2 shown]
	s_mov_b32 s12, s51
	s_mov_b32 s13, s50
	;; [unrolled: 1-line block ×3, first 2 shown]
	s_swappc_b64 s[30:31], s[16:17]
.LBB2_230:                              ;   in Loop: Header=BB2_90 Depth=1
	s_mov_b32 s4, 0
.LBB2_231:                              ;   in Loop: Header=BB2_90 Depth=1
	s_andn2_b32 vcc_lo, exec_lo, s4
	s_cbranch_vccnz .LBB2_240
; %bb.232:                              ;   in Loop: Header=BB2_90 Depth=1
	s_cmpk_gt_u32 s65, 0x65
	s_mov_b32 s4, -1
	s_cbranch_scc0 .LBB2_238
; %bb.233:                              ;   in Loop: Header=BB2_90 Depth=1
	s_cmpk_eq_i32 s65, 0x68
	s_cbranch_scc1 .LBB2_235
; %bb.234:                              ;   in Loop: Header=BB2_90 Depth=1
	v_mov_b32_e32 v31, v40
	s_add_u32 s8, s36, 0x1000
	s_addc_u32 s9, s37, 0
	s_getpc_b64 s[16:17]
	s_add_u32 s16, s16, _Z48ncclDevFunc_AllReduce_RING_SIMPLE_Sum_bf16_0_0_4v@rel32@lo+4
	s_addc_u32 s17, s17, _Z48ncclDevFunc_AllReduce_RING_SIMPLE_Sum_bf16_0_0_4v@rel32@hi+12
	s_mov_b64 s[4:5], s[48:49]
	s_mov_b64 s[6:7], s[38:39]
	s_mov_b64 s[10:11], s[34:35]
	s_mov_b32 s12, s51
	s_mov_b32 s13, s50
	;; [unrolled: 1-line block ×3, first 2 shown]
	s_swappc_b64 s[30:31], s[16:17]
	s_mov_b32 s4, 0
.LBB2_235:                              ;   in Loop: Header=BB2_90 Depth=1
	s_andn2_b32 vcc_lo, exec_lo, s4
	s_cbranch_vccnz .LBB2_237
; %bb.236:                              ;   in Loop: Header=BB2_90 Depth=1
	v_mov_b32_e32 v31, v40
	s_add_u32 s8, s36, 0x1000
	s_addc_u32 s9, s37, 0
	s_getpc_b64 s[16:17]
	s_add_u32 s16, s16, _Z48ncclDevFunc_AllReduce_RING_SIMPLE_Sum_bf16_0_1_4v@rel32@lo+4
	s_addc_u32 s17, s17, _Z48ncclDevFunc_AllReduce_RING_SIMPLE_Sum_bf16_0_1_4v@rel32@hi+12
	s_mov_b64 s[4:5], s[48:49]
	s_mov_b64 s[6:7], s[38:39]
	;; [unrolled: 1-line block ×3, first 2 shown]
	s_mov_b32 s12, s51
	s_mov_b32 s13, s50
	s_mov_b32 s14, s33
	s_swappc_b64 s[30:31], s[16:17]
.LBB2_237:                              ;   in Loop: Header=BB2_90 Depth=1
	s_mov_b32 s4, 0
.LBB2_238:                              ;   in Loop: Header=BB2_90 Depth=1
	s_andn2_b32 vcc_lo, exec_lo, s4
	s_cbranch_vccnz .LBB2_240
; %bb.239:                              ;   in Loop: Header=BB2_90 Depth=1
	v_mov_b32_e32 v31, v40
	s_add_u32 s8, s36, 0x1000
	s_addc_u32 s9, s37, 0
	s_getpc_b64 s[16:17]
	s_add_u32 s16, s16, _Z47ncclDevFunc_AllReduce_RING_SIMPLE_Sum_f64_0_0_4v@rel32@lo+4
	s_addc_u32 s17, s17, _Z47ncclDevFunc_AllReduce_RING_SIMPLE_Sum_f64_0_0_4v@rel32@hi+12
	s_mov_b64 s[4:5], s[48:49]
	s_mov_b64 s[6:7], s[38:39]
	;; [unrolled: 1-line block ×3, first 2 shown]
	s_mov_b32 s12, s51
	s_mov_b32 s13, s50
	s_mov_b32 s14, s33
	s_swappc_b64 s[30:31], s[16:17]
.LBB2_240:                              ;   in Loop: Header=BB2_90 Depth=1
	s_mov_b32 s4, 0
.LBB2_241:                              ;   in Loop: Header=BB2_90 Depth=1
	s_andn2_b32 vcc_lo, exec_lo, s4
	s_cbranch_vccnz .LBB2_264
; %bb.242:                              ;   in Loop: Header=BB2_90 Depth=1
	s_cmpk_gt_u32 s65, 0x5d
	s_mov_b32 s4, -1
	s_cbranch_scc0 .LBB2_252
; %bb.243:                              ;   in Loop: Header=BB2_90 Depth=1
	s_cmpk_gt_u32 s65, 0x60
	s_cbranch_scc0 .LBB2_249
; %bb.244:                              ;   in Loop: Header=BB2_90 Depth=1
	s_cmpk_lg_i32 s65, 0x61
	s_cbranch_scc0 .LBB2_246
; %bb.245:                              ;   in Loop: Header=BB2_90 Depth=1
	v_mov_b32_e32 v31, v40
	s_add_u32 s8, s36, 0x1000
	s_addc_u32 s9, s37, 0
	s_getpc_b64 s[16:17]
	s_add_u32 s16, s16, _Z47ncclDevFunc_AllReduce_RING_SIMPLE_Sum_f32_0_0_4v@rel32@lo+4
	s_addc_u32 s17, s17, _Z47ncclDevFunc_AllReduce_RING_SIMPLE_Sum_f32_0_0_4v@rel32@hi+12
	s_mov_b64 s[4:5], s[48:49]
	s_mov_b64 s[6:7], s[38:39]
	;; [unrolled: 1-line block ×3, first 2 shown]
	s_mov_b32 s12, s51
	s_mov_b32 s13, s50
	;; [unrolled: 1-line block ×3, first 2 shown]
	s_swappc_b64 s[30:31], s[16:17]
	s_mov_b32 s4, 0
.LBB2_246:                              ;   in Loop: Header=BB2_90 Depth=1
	s_andn2_b32 vcc_lo, exec_lo, s4
	s_cbranch_vccnz .LBB2_248
; %bb.247:                              ;   in Loop: Header=BB2_90 Depth=1
	v_mov_b32_e32 v31, v40
	s_add_u32 s8, s36, 0x1000
	s_addc_u32 s9, s37, 0
	s_getpc_b64 s[16:17]
	s_add_u32 s16, s16, _Z47ncclDevFunc_AllReduce_RING_SIMPLE_Sum_f16_0_0_4v@rel32@lo+4
	s_addc_u32 s17, s17, _Z47ncclDevFunc_AllReduce_RING_SIMPLE_Sum_f16_0_0_4v@rel32@hi+12
	s_mov_b64 s[4:5], s[48:49]
	s_mov_b64 s[6:7], s[38:39]
	;; [unrolled: 1-line block ×3, first 2 shown]
	s_mov_b32 s12, s51
	s_mov_b32 s13, s50
	;; [unrolled: 1-line block ×3, first 2 shown]
	s_swappc_b64 s[30:31], s[16:17]
.LBB2_248:                              ;   in Loop: Header=BB2_90 Depth=1
	s_mov_b32 s4, 0
.LBB2_249:                              ;   in Loop: Header=BB2_90 Depth=1
	s_andn2_b32 vcc_lo, exec_lo, s4
	s_cbranch_vccnz .LBB2_251
; %bb.250:                              ;   in Loop: Header=BB2_90 Depth=1
	v_mov_b32_e32 v31, v40
	s_add_u32 s8, s36, 0x1000
	s_addc_u32 s9, s37, 0
	s_getpc_b64 s[16:17]
	s_add_u32 s16, s16, _Z47ncclDevFunc_AllReduce_RING_SIMPLE_Sum_u64_0_0_4v@rel32@lo+4
	s_addc_u32 s17, s17, _Z47ncclDevFunc_AllReduce_RING_SIMPLE_Sum_u64_0_0_4v@rel32@hi+12
	s_mov_b64 s[4:5], s[48:49]
	s_mov_b64 s[6:7], s[38:39]
	;; [unrolled: 1-line block ×3, first 2 shown]
	s_mov_b32 s12, s51
	s_mov_b32 s13, s50
	;; [unrolled: 1-line block ×3, first 2 shown]
	s_swappc_b64 s[30:31], s[16:17]
.LBB2_251:                              ;   in Loop: Header=BB2_90 Depth=1
	s_mov_b32 s4, 0
.LBB2_252:                              ;   in Loop: Header=BB2_90 Depth=1
	s_andn2_b32 vcc_lo, exec_lo, s4
	s_cbranch_vccnz .LBB2_264
; %bb.253:                              ;   in Loop: Header=BB2_90 Depth=1
	s_cmpk_gt_u32 s65, 0x5a
	s_mov_b32 s4, -1
	s_cbranch_scc0 .LBB2_259
; %bb.254:                              ;   in Loop: Header=BB2_90 Depth=1
	s_cmpk_lg_i32 s65, 0x5b
	s_cbranch_scc0 .LBB2_256
; %bb.255:                              ;   in Loop: Header=BB2_90 Depth=1
	v_mov_b32_e32 v31, v40
	s_add_u32 s8, s36, 0x1000
	s_addc_u32 s9, s37, 0
	s_getpc_b64 s[16:17]
	s_add_u32 s16, s16, _Z47ncclDevFunc_AllReduce_RING_SIMPLE_Sum_u32_0_0_4v@rel32@lo+4
	s_addc_u32 s17, s17, _Z47ncclDevFunc_AllReduce_RING_SIMPLE_Sum_u32_0_0_4v@rel32@hi+12
	s_mov_b64 s[4:5], s[48:49]
	s_mov_b64 s[6:7], s[38:39]
	;; [unrolled: 1-line block ×3, first 2 shown]
	s_mov_b32 s12, s51
	s_mov_b32 s13, s50
	;; [unrolled: 1-line block ×3, first 2 shown]
	s_swappc_b64 s[30:31], s[16:17]
	s_mov_b32 s4, 0
.LBB2_256:                              ;   in Loop: Header=BB2_90 Depth=1
	s_andn2_b32 vcc_lo, exec_lo, s4
	s_cbranch_vccnz .LBB2_258
; %bb.257:                              ;   in Loop: Header=BB2_90 Depth=1
	v_mov_b32_e32 v31, v40
	s_add_u32 s8, s36, 0x1000
	s_addc_u32 s9, s37, 0
	s_getpc_b64 s[16:17]
	s_add_u32 s16, s16, _Z46ncclDevFunc_AllReduce_RING_SIMPLE_Sum_u8_0_0_4v@rel32@lo+4
	s_addc_u32 s17, s17, _Z46ncclDevFunc_AllReduce_RING_SIMPLE_Sum_u8_0_0_4v@rel32@hi+12
	s_mov_b64 s[4:5], s[48:49]
	s_mov_b64 s[6:7], s[38:39]
	s_mov_b64 s[10:11], s[34:35]
	s_mov_b32 s12, s51
	s_mov_b32 s13, s50
	;; [unrolled: 1-line block ×3, first 2 shown]
	s_swappc_b64 s[30:31], s[16:17]
.LBB2_258:                              ;   in Loop: Header=BB2_90 Depth=1
	s_mov_b32 s4, 0
.LBB2_259:                              ;   in Loop: Header=BB2_90 Depth=1
	s_andn2_b32 vcc_lo, exec_lo, s4
	s_cbranch_vccnz .LBB2_264
; %bb.260:                              ;   in Loop: Header=BB2_90 Depth=1
	s_cmpk_eq_i32 s65, 0x5a
	s_mov_b32 s4, -1
	s_cbranch_scc1 .LBB2_262
; %bb.261:                              ;   in Loop: Header=BB2_90 Depth=1
	v_mov_b32_e32 v31, v40
	s_add_u32 s8, s36, 0x1000
	s_addc_u32 s9, s37, 0
	s_getpc_b64 s[16:17]
	s_add_u32 s16, s16, _Z54ncclDevFunc_ReduceScatter_RING_LL_SumPostDiv_u32_0_0_4v@rel32@lo+4
	s_addc_u32 s17, s17, _Z54ncclDevFunc_ReduceScatter_RING_LL_SumPostDiv_u32_0_0_4v@rel32@hi+12
	s_mov_b64 s[4:5], s[48:49]
	s_mov_b64 s[6:7], s[38:39]
	;; [unrolled: 1-line block ×3, first 2 shown]
	s_mov_b32 s12, s51
	s_mov_b32 s13, s50
	;; [unrolled: 1-line block ×3, first 2 shown]
	s_swappc_b64 s[30:31], s[16:17]
	s_mov_b32 s4, 0
.LBB2_262:                              ;   in Loop: Header=BB2_90 Depth=1
	s_andn2_b32 vcc_lo, exec_lo, s4
	s_cbranch_vccnz .LBB2_264
; %bb.263:                              ;   in Loop: Header=BB2_90 Depth=1
	v_mov_b32_e32 v31, v40
	s_add_u32 s8, s36, 0x1000
	s_addc_u32 s9, s37, 0
	s_getpc_b64 s[16:17]
	s_add_u32 s16, s16, _Z54ncclDevFunc_ReduceScatter_RING_LL_SumPostDiv_u64_0_0_4v@rel32@lo+4
	s_addc_u32 s17, s17, _Z54ncclDevFunc_ReduceScatter_RING_LL_SumPostDiv_u64_0_0_4v@rel32@hi+12
	s_mov_b64 s[4:5], s[48:49]
	s_mov_b64 s[6:7], s[38:39]
	;; [unrolled: 1-line block ×3, first 2 shown]
	s_mov_b32 s12, s51
	s_mov_b32 s13, s50
	;; [unrolled: 1-line block ×3, first 2 shown]
	s_swappc_b64 s[30:31], s[16:17]
.LBB2_264:                              ;   in Loop: Header=BB2_90 Depth=1
	s_mov_b32 s4, 0
.LBB2_265:                              ;   in Loop: Header=BB2_90 Depth=1
	s_andn2_b32 vcc_lo, exec_lo, s4
	s_cbranch_vccnz .LBB2_576
; %bb.266:                              ;   in Loop: Header=BB2_90 Depth=1
	s_and_b32 s65, 0xffff, s64
	s_mov_b32 s4, -1
	s_cmp_gt_u32 s65, 43
	s_cbranch_scc0 .LBB2_421
; %bb.267:                              ;   in Loop: Header=BB2_90 Depth=1
	s_cmpk_gt_u32 s65, 0x41
	s_cbranch_scc0 .LBB2_350
; %bb.268:                              ;   in Loop: Header=BB2_90 Depth=1
	s_cmpk_gt_u32 s65, 0x4c
	;; [unrolled: 3-line block ×4, first 2 shown]
	s_cbranch_scc0 .LBB2_280
; %bb.271:                              ;   in Loop: Header=BB2_90 Depth=1
	s_sext_i32_i16 s4, s64
	s_cmpk_lt_i32 s4, 0x57
	s_mov_b32 s4, -1
	s_cbranch_scc1 .LBB2_277
; %bb.272:                              ;   in Loop: Header=BB2_90 Depth=1
	s_cmpk_lg_i32 s65, 0x57
	s_cbranch_scc0 .LBB2_274
; %bb.273:                              ;   in Loop: Header=BB2_90 Depth=1
	v_mov_b32_e32 v31, v40
	s_add_u32 s8, s36, 0x1000
	s_addc_u32 s9, s37, 0
	s_getpc_b64 s[16:17]
	s_add_u32 s16, s16, _Z53ncclDevFunc_ReduceScatter_RING_LL_SumPostDiv_u8_0_0_4v@rel32@lo+4
	s_addc_u32 s17, s17, _Z53ncclDevFunc_ReduceScatter_RING_LL_SumPostDiv_u8_0_0_4v@rel32@hi+12
	s_mov_b64 s[4:5], s[48:49]
	s_mov_b64 s[6:7], s[38:39]
	;; [unrolled: 1-line block ×3, first 2 shown]
	s_mov_b32 s12, s51
	s_mov_b32 s13, s50
	;; [unrolled: 1-line block ×3, first 2 shown]
	s_swappc_b64 s[30:31], s[16:17]
	s_mov_b32 s4, 0
.LBB2_274:                              ;   in Loop: Header=BB2_90 Depth=1
	s_andn2_b32 vcc_lo, exec_lo, s4
	s_cbranch_vccnz .LBB2_276
; %bb.275:                              ;   in Loop: Header=BB2_90 Depth=1
	v_mov_b32_e32 v31, v40
	s_add_u32 s8, s36, 0x1000
	s_addc_u32 s9, s37, 0
	s_getpc_b64 s[16:17]
	s_add_u32 s16, s16, _Z56ncclDevFunc_ReduceScatter_RING_LL_PreMulSum_f8e5m2_0_0_4v@rel32@lo+4
	s_addc_u32 s17, s17, _Z56ncclDevFunc_ReduceScatter_RING_LL_PreMulSum_f8e5m2_0_0_4v@rel32@hi+12
	s_mov_b64 s[4:5], s[48:49]
	s_mov_b64 s[6:7], s[38:39]
	;; [unrolled: 1-line block ×3, first 2 shown]
	s_mov_b32 s12, s51
	s_mov_b32 s13, s50
	;; [unrolled: 1-line block ×3, first 2 shown]
	s_swappc_b64 s[30:31], s[16:17]
.LBB2_276:                              ;   in Loop: Header=BB2_90 Depth=1
	s_mov_b32 s4, 0
.LBB2_277:                              ;   in Loop: Header=BB2_90 Depth=1
	s_andn2_b32 vcc_lo, exec_lo, s4
	s_cbranch_vccnz .LBB2_279
; %bb.278:                              ;   in Loop: Header=BB2_90 Depth=1
	v_mov_b32_e32 v31, v40
	s_add_u32 s8, s36, 0x1000
	s_addc_u32 s9, s37, 0
	s_getpc_b64 s[16:17]
	s_add_u32 s16, s16, _Z56ncclDevFunc_ReduceScatter_RING_LL_PreMulSum_f8e4m3_0_0_4v@rel32@lo+4
	s_addc_u32 s17, s17, _Z56ncclDevFunc_ReduceScatter_RING_LL_PreMulSum_f8e4m3_0_0_4v@rel32@hi+12
	s_mov_b64 s[4:5], s[48:49]
	s_mov_b64 s[6:7], s[38:39]
	s_mov_b64 s[10:11], s[34:35]
	s_mov_b32 s12, s51
	s_mov_b32 s13, s50
	s_mov_b32 s14, s33
	s_swappc_b64 s[30:31], s[16:17]
.LBB2_279:                              ;   in Loop: Header=BB2_90 Depth=1
	s_mov_b32 s4, 0
.LBB2_280:                              ;   in Loop: Header=BB2_90 Depth=1
	s_and_b32 vcc_lo, exec_lo, s4
	s_cbranch_vccz .LBB2_289
; %bb.281:                              ;   in Loop: Header=BB2_90 Depth=1
	s_sext_i32_i16 s4, s64
	s_cmpk_lt_i32 s4, 0x54
	s_mov_b32 s4, -1
	s_cbranch_scc1 .LBB2_287
; %bb.282:                              ;   in Loop: Header=BB2_90 Depth=1
	s_cmpk_lg_i32 s65, 0x54
	s_cbranch_scc0 .LBB2_284
; %bb.283:                              ;   in Loop: Header=BB2_90 Depth=1
	v_mov_b32_e32 v31, v40
	s_add_u32 s8, s36, 0x1000
	s_addc_u32 s9, s37, 0
	s_getpc_b64 s[16:17]
	s_add_u32 s16, s16, _Z54ncclDevFunc_ReduceScatter_RING_LL_PreMulSum_bf16_0_0_4v@rel32@lo+4
	s_addc_u32 s17, s17, _Z54ncclDevFunc_ReduceScatter_RING_LL_PreMulSum_bf16_0_0_4v@rel32@hi+12
	s_mov_b64 s[4:5], s[48:49]
	s_mov_b64 s[6:7], s[38:39]
	s_mov_b64 s[10:11], s[34:35]
	s_mov_b32 s12, s51
	s_mov_b32 s13, s50
	;; [unrolled: 1-line block ×3, first 2 shown]
	s_swappc_b64 s[30:31], s[16:17]
	s_mov_b32 s4, 0
.LBB2_284:                              ;   in Loop: Header=BB2_90 Depth=1
	s_andn2_b32 vcc_lo, exec_lo, s4
	s_cbranch_vccnz .LBB2_286
; %bb.285:                              ;   in Loop: Header=BB2_90 Depth=1
	v_mov_b32_e32 v31, v40
	s_add_u32 s8, s36, 0x1000
	s_addc_u32 s9, s37, 0
	s_getpc_b64 s[16:17]
	s_add_u32 s16, s16, _Z53ncclDevFunc_ReduceScatter_RING_LL_PreMulSum_f64_0_0_4v@rel32@lo+4
	s_addc_u32 s17, s17, _Z53ncclDevFunc_ReduceScatter_RING_LL_PreMulSum_f64_0_0_4v@rel32@hi+12
	s_mov_b64 s[4:5], s[48:49]
	s_mov_b64 s[6:7], s[38:39]
	;; [unrolled: 1-line block ×3, first 2 shown]
	s_mov_b32 s12, s51
	s_mov_b32 s13, s50
	;; [unrolled: 1-line block ×3, first 2 shown]
	s_swappc_b64 s[30:31], s[16:17]
.LBB2_286:                              ;   in Loop: Header=BB2_90 Depth=1
	s_mov_b32 s4, 0
.LBB2_287:                              ;   in Loop: Header=BB2_90 Depth=1
	s_andn2_b32 vcc_lo, exec_lo, s4
	s_cbranch_vccnz .LBB2_289
; %bb.288:                              ;   in Loop: Header=BB2_90 Depth=1
	v_mov_b32_e32 v31, v40
	s_add_u32 s8, s36, 0x1000
	s_addc_u32 s9, s37, 0
	s_getpc_b64 s[16:17]
	s_add_u32 s16, s16, _Z53ncclDevFunc_ReduceScatter_RING_LL_PreMulSum_f32_0_0_4v@rel32@lo+4
	s_addc_u32 s17, s17, _Z53ncclDevFunc_ReduceScatter_RING_LL_PreMulSum_f32_0_0_4v@rel32@hi+12
	s_mov_b64 s[4:5], s[48:49]
	s_mov_b64 s[6:7], s[38:39]
	s_mov_b64 s[10:11], s[34:35]
	s_mov_b32 s12, s51
	s_mov_b32 s13, s50
	;; [unrolled: 1-line block ×3, first 2 shown]
	s_swappc_b64 s[30:31], s[16:17]
.LBB2_289:                              ;   in Loop: Header=BB2_90 Depth=1
	s_mov_b32 s4, 0
.LBB2_290:                              ;   in Loop: Header=BB2_90 Depth=1
	s_andn2_b32 vcc_lo, exec_lo, s4
	s_cbranch_vccnz .LBB2_310
; %bb.291:                              ;   in Loop: Header=BB2_90 Depth=1
	s_cmpk_gt_u32 s65, 0x4f
	s_mov_b32 s4, -1
	s_cbranch_scc0 .LBB2_301
; %bb.292:                              ;   in Loop: Header=BB2_90 Depth=1
	s_sext_i32_i16 s4, s64
	s_cmpk_lt_i32 s4, 0x51
	s_mov_b32 s4, -1
	s_cbranch_scc1 .LBB2_298
; %bb.293:                              ;   in Loop: Header=BB2_90 Depth=1
	s_cmpk_lg_i32 s65, 0x51
	s_cbranch_scc0 .LBB2_295
; %bb.294:                              ;   in Loop: Header=BB2_90 Depth=1
	v_mov_b32_e32 v31, v40
	s_add_u32 s8, s36, 0x1000
	s_addc_u32 s9, s37, 0
	s_getpc_b64 s[16:17]
	s_add_u32 s16, s16, _Z53ncclDevFunc_ReduceScatter_RING_LL_PreMulSum_f16_0_0_4v@rel32@lo+4
	s_addc_u32 s17, s17, _Z53ncclDevFunc_ReduceScatter_RING_LL_PreMulSum_f16_0_0_4v@rel32@hi+12
	s_mov_b64 s[4:5], s[48:49]
	s_mov_b64 s[6:7], s[38:39]
	;; [unrolled: 1-line block ×3, first 2 shown]
	s_mov_b32 s12, s51
	s_mov_b32 s13, s50
	;; [unrolled: 1-line block ×3, first 2 shown]
	s_swappc_b64 s[30:31], s[16:17]
	s_mov_b32 s4, 0
.LBB2_295:                              ;   in Loop: Header=BB2_90 Depth=1
	s_andn2_b32 vcc_lo, exec_lo, s4
	s_cbranch_vccnz .LBB2_297
; %bb.296:                              ;   in Loop: Header=BB2_90 Depth=1
	v_mov_b32_e32 v31, v40
	s_add_u32 s8, s36, 0x1000
	s_addc_u32 s9, s37, 0
	s_getpc_b64 s[16:17]
	s_add_u32 s16, s16, _Z53ncclDevFunc_ReduceScatter_RING_LL_PreMulSum_u64_0_0_4v@rel32@lo+4
	s_addc_u32 s17, s17, _Z53ncclDevFunc_ReduceScatter_RING_LL_PreMulSum_u64_0_0_4v@rel32@hi+12
	s_mov_b64 s[4:5], s[48:49]
	s_mov_b64 s[6:7], s[38:39]
	;; [unrolled: 1-line block ×3, first 2 shown]
	s_mov_b32 s12, s51
	s_mov_b32 s13, s50
	;; [unrolled: 1-line block ×3, first 2 shown]
	s_swappc_b64 s[30:31], s[16:17]
.LBB2_297:                              ;   in Loop: Header=BB2_90 Depth=1
	s_mov_b32 s4, 0
.LBB2_298:                              ;   in Loop: Header=BB2_90 Depth=1
	s_andn2_b32 vcc_lo, exec_lo, s4
	s_cbranch_vccnz .LBB2_300
; %bb.299:                              ;   in Loop: Header=BB2_90 Depth=1
	v_mov_b32_e32 v31, v40
	s_add_u32 s8, s36, 0x1000
	s_addc_u32 s9, s37, 0
	s_getpc_b64 s[16:17]
	s_add_u32 s16, s16, _Z53ncclDevFunc_ReduceScatter_RING_LL_PreMulSum_u32_0_0_4v@rel32@lo+4
	s_addc_u32 s17, s17, _Z53ncclDevFunc_ReduceScatter_RING_LL_PreMulSum_u32_0_0_4v@rel32@hi+12
	s_mov_b64 s[4:5], s[48:49]
	s_mov_b64 s[6:7], s[38:39]
	;; [unrolled: 1-line block ×3, first 2 shown]
	s_mov_b32 s12, s51
	s_mov_b32 s13, s50
	;; [unrolled: 1-line block ×3, first 2 shown]
	s_swappc_b64 s[30:31], s[16:17]
.LBB2_300:                              ;   in Loop: Header=BB2_90 Depth=1
	s_mov_b32 s4, 0
.LBB2_301:                              ;   in Loop: Header=BB2_90 Depth=1
	s_and_b32 vcc_lo, exec_lo, s4
	s_cbranch_vccz .LBB2_310
; %bb.302:                              ;   in Loop: Header=BB2_90 Depth=1
	s_sext_i32_i16 s4, s64
	s_cmpk_lt_i32 s4, 0x4e
	s_mov_b32 s4, -1
	s_cbranch_scc1 .LBB2_308
; %bb.303:                              ;   in Loop: Header=BB2_90 Depth=1
	s_cmpk_lg_i32 s65, 0x4e
	s_cbranch_scc0 .LBB2_305
; %bb.304:                              ;   in Loop: Header=BB2_90 Depth=1
	v_mov_b32_e32 v31, v40
	s_add_u32 s8, s36, 0x1000
	s_addc_u32 s9, s37, 0
	s_getpc_b64 s[16:17]
	s_add_u32 s16, s16, _Z52ncclDevFunc_ReduceScatter_RING_LL_PreMulSum_u8_0_0_4v@rel32@lo+4
	s_addc_u32 s17, s17, _Z52ncclDevFunc_ReduceScatter_RING_LL_PreMulSum_u8_0_0_4v@rel32@hi+12
	s_mov_b64 s[4:5], s[48:49]
	s_mov_b64 s[6:7], s[38:39]
	;; [unrolled: 1-line block ×3, first 2 shown]
	s_mov_b32 s12, s51
	s_mov_b32 s13, s50
	;; [unrolled: 1-line block ×3, first 2 shown]
	s_swappc_b64 s[30:31], s[16:17]
	s_mov_b32 s4, 0
.LBB2_305:                              ;   in Loop: Header=BB2_90 Depth=1
	s_andn2_b32 vcc_lo, exec_lo, s4
	s_cbranch_vccnz .LBB2_307
; %bb.306:                              ;   in Loop: Header=BB2_90 Depth=1
	v_mov_b32_e32 v31, v40
	s_add_u32 s8, s36, 0x1000
	s_addc_u32 s9, s37, 0
	s_getpc_b64 s[16:17]
	s_add_u32 s16, s16, _Z53ncclDevFunc_ReduceScatter_RING_LL_MinMax_f8e5m2_0_0_4v@rel32@lo+4
	s_addc_u32 s17, s17, _Z53ncclDevFunc_ReduceScatter_RING_LL_MinMax_f8e5m2_0_0_4v@rel32@hi+12
	s_mov_b64 s[4:5], s[48:49]
	s_mov_b64 s[6:7], s[38:39]
	;; [unrolled: 1-line block ×3, first 2 shown]
	s_mov_b32 s12, s51
	s_mov_b32 s13, s50
	;; [unrolled: 1-line block ×3, first 2 shown]
	s_swappc_b64 s[30:31], s[16:17]
.LBB2_307:                              ;   in Loop: Header=BB2_90 Depth=1
	s_mov_b32 s4, 0
.LBB2_308:                              ;   in Loop: Header=BB2_90 Depth=1
	s_andn2_b32 vcc_lo, exec_lo, s4
	s_cbranch_vccnz .LBB2_310
; %bb.309:                              ;   in Loop: Header=BB2_90 Depth=1
	v_mov_b32_e32 v31, v40
	s_add_u32 s8, s36, 0x1000
	s_addc_u32 s9, s37, 0
	s_getpc_b64 s[16:17]
	s_add_u32 s16, s16, _Z53ncclDevFunc_ReduceScatter_RING_LL_MinMax_f8e4m3_0_0_4v@rel32@lo+4
	s_addc_u32 s17, s17, _Z53ncclDevFunc_ReduceScatter_RING_LL_MinMax_f8e4m3_0_0_4v@rel32@hi+12
	s_mov_b64 s[4:5], s[48:49]
	s_mov_b64 s[6:7], s[38:39]
	;; [unrolled: 1-line block ×3, first 2 shown]
	s_mov_b32 s12, s51
	s_mov_b32 s13, s50
	;; [unrolled: 1-line block ×3, first 2 shown]
	s_swappc_b64 s[30:31], s[16:17]
.LBB2_310:                              ;   in Loop: Header=BB2_90 Depth=1
	s_mov_b32 s4, 0
.LBB2_311:                              ;   in Loop: Header=BB2_90 Depth=1
	s_andn2_b32 vcc_lo, exec_lo, s4
	s_cbranch_vccnz .LBB2_349
; %bb.312:                              ;   in Loop: Header=BB2_90 Depth=1
	s_cmpk_gt_u32 s65, 0x46
	s_mov_b32 s4, -1
	s_cbranch_scc0 .LBB2_333
; %bb.313:                              ;   in Loop: Header=BB2_90 Depth=1
	s_cmpk_gt_u32 s65, 0x49
	s_cbranch_scc0 .LBB2_323
; %bb.314:                              ;   in Loop: Header=BB2_90 Depth=1
	s_sext_i32_i16 s4, s64
	s_cmpk_lt_i32 s4, 0x4b
	s_mov_b32 s4, -1
	s_cbranch_scc1 .LBB2_320
; %bb.315:                              ;   in Loop: Header=BB2_90 Depth=1
	s_cmpk_lg_i32 s65, 0x4b
	s_cbranch_scc0 .LBB2_317
; %bb.316:                              ;   in Loop: Header=BB2_90 Depth=1
	v_mov_b32_e32 v31, v40
	s_add_u32 s8, s36, 0x1000
	s_addc_u32 s9, s37, 0
	s_getpc_b64 s[16:17]
	s_add_u32 s16, s16, _Z51ncclDevFunc_ReduceScatter_RING_LL_MinMax_bf16_0_0_4v@rel32@lo+4
	s_addc_u32 s17, s17, _Z51ncclDevFunc_ReduceScatter_RING_LL_MinMax_bf16_0_0_4v@rel32@hi+12
	s_mov_b64 s[4:5], s[48:49]
	s_mov_b64 s[6:7], s[38:39]
	;; [unrolled: 1-line block ×3, first 2 shown]
	s_mov_b32 s12, s51
	s_mov_b32 s13, s50
	;; [unrolled: 1-line block ×3, first 2 shown]
	s_swappc_b64 s[30:31], s[16:17]
	s_mov_b32 s4, 0
.LBB2_317:                              ;   in Loop: Header=BB2_90 Depth=1
	s_andn2_b32 vcc_lo, exec_lo, s4
	s_cbranch_vccnz .LBB2_319
; %bb.318:                              ;   in Loop: Header=BB2_90 Depth=1
	v_mov_b32_e32 v31, v40
	s_add_u32 s8, s36, 0x1000
	s_addc_u32 s9, s37, 0
	s_getpc_b64 s[16:17]
	s_add_u32 s16, s16, _Z50ncclDevFunc_ReduceScatter_RING_LL_MinMax_f64_0_0_4v@rel32@lo+4
	s_addc_u32 s17, s17, _Z50ncclDevFunc_ReduceScatter_RING_LL_MinMax_f64_0_0_4v@rel32@hi+12
	s_mov_b64 s[4:5], s[48:49]
	s_mov_b64 s[6:7], s[38:39]
	;; [unrolled: 1-line block ×3, first 2 shown]
	s_mov_b32 s12, s51
	s_mov_b32 s13, s50
	;; [unrolled: 1-line block ×3, first 2 shown]
	s_swappc_b64 s[30:31], s[16:17]
.LBB2_319:                              ;   in Loop: Header=BB2_90 Depth=1
	s_mov_b32 s4, 0
.LBB2_320:                              ;   in Loop: Header=BB2_90 Depth=1
	s_andn2_b32 vcc_lo, exec_lo, s4
	s_cbranch_vccnz .LBB2_322
; %bb.321:                              ;   in Loop: Header=BB2_90 Depth=1
	v_mov_b32_e32 v31, v40
	s_add_u32 s8, s36, 0x1000
	s_addc_u32 s9, s37, 0
	s_getpc_b64 s[16:17]
	s_add_u32 s16, s16, _Z50ncclDevFunc_ReduceScatter_RING_LL_MinMax_f32_0_0_4v@rel32@lo+4
	s_addc_u32 s17, s17, _Z50ncclDevFunc_ReduceScatter_RING_LL_MinMax_f32_0_0_4v@rel32@hi+12
	s_mov_b64 s[4:5], s[48:49]
	s_mov_b64 s[6:7], s[38:39]
	;; [unrolled: 1-line block ×3, first 2 shown]
	s_mov_b32 s12, s51
	s_mov_b32 s13, s50
	s_mov_b32 s14, s33
	s_swappc_b64 s[30:31], s[16:17]
.LBB2_322:                              ;   in Loop: Header=BB2_90 Depth=1
	s_mov_b32 s4, 0
.LBB2_323:                              ;   in Loop: Header=BB2_90 Depth=1
	s_and_b32 vcc_lo, exec_lo, s4
	s_cbranch_vccz .LBB2_332
; %bb.324:                              ;   in Loop: Header=BB2_90 Depth=1
	s_sext_i32_i16 s4, s64
	s_cmpk_lt_i32 s4, 0x48
	s_mov_b32 s4, -1
	s_cbranch_scc1 .LBB2_330
; %bb.325:                              ;   in Loop: Header=BB2_90 Depth=1
	s_cmpk_lg_i32 s65, 0x48
	s_cbranch_scc0 .LBB2_327
; %bb.326:                              ;   in Loop: Header=BB2_90 Depth=1
	v_mov_b32_e32 v31, v40
	s_add_u32 s8, s36, 0x1000
	s_addc_u32 s9, s37, 0
	s_getpc_b64 s[16:17]
	s_add_u32 s16, s16, _Z50ncclDevFunc_ReduceScatter_RING_LL_MinMax_f16_0_0_4v@rel32@lo+4
	s_addc_u32 s17, s17, _Z50ncclDevFunc_ReduceScatter_RING_LL_MinMax_f16_0_0_4v@rel32@hi+12
	s_mov_b64 s[4:5], s[48:49]
	s_mov_b64 s[6:7], s[38:39]
	;; [unrolled: 1-line block ×3, first 2 shown]
	s_mov_b32 s12, s51
	s_mov_b32 s13, s50
	;; [unrolled: 1-line block ×3, first 2 shown]
	s_swappc_b64 s[30:31], s[16:17]
	s_mov_b32 s4, 0
.LBB2_327:                              ;   in Loop: Header=BB2_90 Depth=1
	s_andn2_b32 vcc_lo, exec_lo, s4
	s_cbranch_vccnz .LBB2_329
; %bb.328:                              ;   in Loop: Header=BB2_90 Depth=1
	v_mov_b32_e32 v31, v40
	s_add_u32 s8, s36, 0x1000
	s_addc_u32 s9, s37, 0
	s_getpc_b64 s[16:17]
	s_add_u32 s16, s16, _Z50ncclDevFunc_ReduceScatter_RING_LL_MinMax_u64_0_0_4v@rel32@lo+4
	s_addc_u32 s17, s17, _Z50ncclDevFunc_ReduceScatter_RING_LL_MinMax_u64_0_0_4v@rel32@hi+12
	s_mov_b64 s[4:5], s[48:49]
	s_mov_b64 s[6:7], s[38:39]
	;; [unrolled: 1-line block ×3, first 2 shown]
	s_mov_b32 s12, s51
	s_mov_b32 s13, s50
	s_mov_b32 s14, s33
	s_swappc_b64 s[30:31], s[16:17]
.LBB2_329:                              ;   in Loop: Header=BB2_90 Depth=1
	s_mov_b32 s4, 0
.LBB2_330:                              ;   in Loop: Header=BB2_90 Depth=1
	s_andn2_b32 vcc_lo, exec_lo, s4
	s_cbranch_vccnz .LBB2_332
; %bb.331:                              ;   in Loop: Header=BB2_90 Depth=1
	v_mov_b32_e32 v31, v40
	s_add_u32 s8, s36, 0x1000
	s_addc_u32 s9, s37, 0
	s_getpc_b64 s[16:17]
	s_add_u32 s16, s16, _Z50ncclDevFunc_ReduceScatter_RING_LL_MinMax_u32_0_0_4v@rel32@lo+4
	s_addc_u32 s17, s17, _Z50ncclDevFunc_ReduceScatter_RING_LL_MinMax_u32_0_0_4v@rel32@hi+12
	s_mov_b64 s[4:5], s[48:49]
	s_mov_b64 s[6:7], s[38:39]
	;; [unrolled: 1-line block ×3, first 2 shown]
	s_mov_b32 s12, s51
	s_mov_b32 s13, s50
	;; [unrolled: 1-line block ×3, first 2 shown]
	s_swappc_b64 s[30:31], s[16:17]
.LBB2_332:                              ;   in Loop: Header=BB2_90 Depth=1
	s_mov_b32 s4, 0
.LBB2_333:                              ;   in Loop: Header=BB2_90 Depth=1
	s_andn2_b32 vcc_lo, exec_lo, s4
	s_cbranch_vccnz .LBB2_349
; %bb.334:                              ;   in Loop: Header=BB2_90 Depth=1
	s_cmpk_gt_u32 s65, 0x43
	s_mov_b32 s4, -1
	s_cbranch_scc0 .LBB2_344
; %bb.335:                              ;   in Loop: Header=BB2_90 Depth=1
	s_sext_i32_i16 s4, s64
	s_cmpk_lt_i32 s4, 0x45
	s_mov_b32 s4, -1
	s_cbranch_scc1 .LBB2_341
; %bb.336:                              ;   in Loop: Header=BB2_90 Depth=1
	s_cmpk_lg_i32 s65, 0x45
	s_cbranch_scc0 .LBB2_338
; %bb.337:                              ;   in Loop: Header=BB2_90 Depth=1
	v_mov_b32_e32 v31, v40
	s_add_u32 s8, s36, 0x1000
	s_addc_u32 s9, s37, 0
	s_getpc_b64 s[16:17]
	s_add_u32 s16, s16, _Z49ncclDevFunc_ReduceScatter_RING_LL_MinMax_u8_0_0_4v@rel32@lo+4
	s_addc_u32 s17, s17, _Z49ncclDevFunc_ReduceScatter_RING_LL_MinMax_u8_0_0_4v@rel32@hi+12
	s_mov_b64 s[4:5], s[48:49]
	s_mov_b64 s[6:7], s[38:39]
	;; [unrolled: 1-line block ×3, first 2 shown]
	s_mov_b32 s12, s51
	s_mov_b32 s13, s50
	;; [unrolled: 1-line block ×3, first 2 shown]
	s_swappc_b64 s[30:31], s[16:17]
	s_mov_b32 s4, 0
.LBB2_338:                              ;   in Loop: Header=BB2_90 Depth=1
	s_andn2_b32 vcc_lo, exec_lo, s4
	s_cbranch_vccnz .LBB2_340
; %bb.339:                              ;   in Loop: Header=BB2_90 Depth=1
	v_mov_b32_e32 v31, v40
	s_add_u32 s8, s36, 0x1000
	s_addc_u32 s9, s37, 0
	s_getpc_b64 s[16:17]
	s_add_u32 s16, s16, _Z51ncclDevFunc_ReduceScatter_RING_LL_Prod_f8e5m2_0_0_4v@rel32@lo+4
	s_addc_u32 s17, s17, _Z51ncclDevFunc_ReduceScatter_RING_LL_Prod_f8e5m2_0_0_4v@rel32@hi+12
	s_mov_b64 s[4:5], s[48:49]
	s_mov_b64 s[6:7], s[38:39]
	;; [unrolled: 1-line block ×3, first 2 shown]
	s_mov_b32 s12, s51
	s_mov_b32 s13, s50
	;; [unrolled: 1-line block ×3, first 2 shown]
	s_swappc_b64 s[30:31], s[16:17]
.LBB2_340:                              ;   in Loop: Header=BB2_90 Depth=1
	s_mov_b32 s4, 0
.LBB2_341:                              ;   in Loop: Header=BB2_90 Depth=1
	s_andn2_b32 vcc_lo, exec_lo, s4
	s_cbranch_vccnz .LBB2_343
; %bb.342:                              ;   in Loop: Header=BB2_90 Depth=1
	v_mov_b32_e32 v31, v40
	s_add_u32 s8, s36, 0x1000
	s_addc_u32 s9, s37, 0
	s_getpc_b64 s[16:17]
	s_add_u32 s16, s16, _Z51ncclDevFunc_ReduceScatter_RING_LL_Prod_f8e4m3_0_0_4v@rel32@lo+4
	s_addc_u32 s17, s17, _Z51ncclDevFunc_ReduceScatter_RING_LL_Prod_f8e4m3_0_0_4v@rel32@hi+12
	s_mov_b64 s[4:5], s[48:49]
	s_mov_b64 s[6:7], s[38:39]
	;; [unrolled: 1-line block ×3, first 2 shown]
	s_mov_b32 s12, s51
	s_mov_b32 s13, s50
	;; [unrolled: 1-line block ×3, first 2 shown]
	s_swappc_b64 s[30:31], s[16:17]
.LBB2_343:                              ;   in Loop: Header=BB2_90 Depth=1
	s_mov_b32 s4, 0
.LBB2_344:                              ;   in Loop: Header=BB2_90 Depth=1
	s_and_b32 vcc_lo, exec_lo, s4
	s_cbranch_vccz .LBB2_349
; %bb.345:                              ;   in Loop: Header=BB2_90 Depth=1
	s_cmpk_eq_i32 s65, 0x43
	s_mov_b32 s4, -1
	s_cbranch_scc1 .LBB2_347
; %bb.346:                              ;   in Loop: Header=BB2_90 Depth=1
	v_mov_b32_e32 v31, v40
	s_add_u32 s8, s36, 0x1000
	s_addc_u32 s9, s37, 0
	s_getpc_b64 s[16:17]
	s_add_u32 s16, s16, _Z48ncclDevFunc_ReduceScatter_RING_LL_Prod_f64_0_0_4v@rel32@lo+4
	s_addc_u32 s17, s17, _Z48ncclDevFunc_ReduceScatter_RING_LL_Prod_f64_0_0_4v@rel32@hi+12
	s_mov_b64 s[4:5], s[48:49]
	s_mov_b64 s[6:7], s[38:39]
	;; [unrolled: 1-line block ×3, first 2 shown]
	s_mov_b32 s12, s51
	s_mov_b32 s13, s50
	s_mov_b32 s14, s33
	s_swappc_b64 s[30:31], s[16:17]
	s_mov_b32 s4, 0
.LBB2_347:                              ;   in Loop: Header=BB2_90 Depth=1
	s_andn2_b32 vcc_lo, exec_lo, s4
	s_cbranch_vccnz .LBB2_349
; %bb.348:                              ;   in Loop: Header=BB2_90 Depth=1
	v_mov_b32_e32 v31, v40
	s_add_u32 s8, s36, 0x1000
	s_addc_u32 s9, s37, 0
	s_getpc_b64 s[16:17]
	s_add_u32 s16, s16, _Z49ncclDevFunc_ReduceScatter_RING_LL_Prod_bf16_0_0_4v@rel32@lo+4
	s_addc_u32 s17, s17, _Z49ncclDevFunc_ReduceScatter_RING_LL_Prod_bf16_0_0_4v@rel32@hi+12
	s_mov_b64 s[4:5], s[48:49]
	s_mov_b64 s[6:7], s[38:39]
	;; [unrolled: 1-line block ×3, first 2 shown]
	s_mov_b32 s12, s51
	s_mov_b32 s13, s50
	;; [unrolled: 1-line block ×3, first 2 shown]
	s_swappc_b64 s[30:31], s[16:17]
.LBB2_349:                              ;   in Loop: Header=BB2_90 Depth=1
	s_mov_b32 s4, 0
.LBB2_350:                              ;   in Loop: Header=BB2_90 Depth=1
	s_andn2_b32 vcc_lo, exec_lo, s4
	s_cbranch_vccnz .LBB2_420
; %bb.351:                              ;   in Loop: Header=BB2_90 Depth=1
	s_cmp_gt_u32 s65, 54
	s_mov_b32 s4, -1
	s_cbranch_scc0 .LBB2_390
; %bb.352:                              ;   in Loop: Header=BB2_90 Depth=1
	s_cmp_gt_u32 s65, 59
	s_cbranch_scc0 .LBB2_373
; %bb.353:                              ;   in Loop: Header=BB2_90 Depth=1
	s_cmp_gt_u32 s65, 62
	s_cbranch_scc0 .LBB2_363
; %bb.354:                              ;   in Loop: Header=BB2_90 Depth=1
	s_sext_i32_i16 s4, s64
	s_cmp_lt_i32 s4, 64
	s_mov_b32 s4, -1
	s_cbranch_scc1 .LBB2_360
; %bb.355:                              ;   in Loop: Header=BB2_90 Depth=1
	s_cmp_lg_u32 s65, 64
	s_cbranch_scc0 .LBB2_357
; %bb.356:                              ;   in Loop: Header=BB2_90 Depth=1
	v_mov_b32_e32 v31, v40
	s_add_u32 s8, s36, 0x1000
	s_addc_u32 s9, s37, 0
	s_getpc_b64 s[16:17]
	s_add_u32 s16, s16, _Z48ncclDevFunc_ReduceScatter_RING_LL_Prod_f32_0_0_4v@rel32@lo+4
	s_addc_u32 s17, s17, _Z48ncclDevFunc_ReduceScatter_RING_LL_Prod_f32_0_0_4v@rel32@hi+12
	s_mov_b64 s[4:5], s[48:49]
	s_mov_b64 s[6:7], s[38:39]
	;; [unrolled: 1-line block ×3, first 2 shown]
	s_mov_b32 s12, s51
	s_mov_b32 s13, s50
	;; [unrolled: 1-line block ×3, first 2 shown]
	s_swappc_b64 s[30:31], s[16:17]
	s_mov_b32 s4, 0
.LBB2_357:                              ;   in Loop: Header=BB2_90 Depth=1
	s_andn2_b32 vcc_lo, exec_lo, s4
	s_cbranch_vccnz .LBB2_359
; %bb.358:                              ;   in Loop: Header=BB2_90 Depth=1
	v_mov_b32_e32 v31, v40
	s_add_u32 s8, s36, 0x1000
	s_addc_u32 s9, s37, 0
	s_getpc_b64 s[16:17]
	s_add_u32 s16, s16, _Z48ncclDevFunc_ReduceScatter_RING_LL_Prod_f16_0_0_4v@rel32@lo+4
	s_addc_u32 s17, s17, _Z48ncclDevFunc_ReduceScatter_RING_LL_Prod_f16_0_0_4v@rel32@hi+12
	s_mov_b64 s[4:5], s[48:49]
	s_mov_b64 s[6:7], s[38:39]
	;; [unrolled: 1-line block ×3, first 2 shown]
	s_mov_b32 s12, s51
	s_mov_b32 s13, s50
	;; [unrolled: 1-line block ×3, first 2 shown]
	s_swappc_b64 s[30:31], s[16:17]
.LBB2_359:                              ;   in Loop: Header=BB2_90 Depth=1
	s_mov_b32 s4, 0
.LBB2_360:                              ;   in Loop: Header=BB2_90 Depth=1
	s_andn2_b32 vcc_lo, exec_lo, s4
	s_cbranch_vccnz .LBB2_362
; %bb.361:                              ;   in Loop: Header=BB2_90 Depth=1
	v_mov_b32_e32 v31, v40
	s_add_u32 s8, s36, 0x1000
	s_addc_u32 s9, s37, 0
	s_getpc_b64 s[16:17]
	s_add_u32 s16, s16, _Z48ncclDevFunc_ReduceScatter_RING_LL_Prod_u64_0_0_4v@rel32@lo+4
	s_addc_u32 s17, s17, _Z48ncclDevFunc_ReduceScatter_RING_LL_Prod_u64_0_0_4v@rel32@hi+12
	s_mov_b64 s[4:5], s[48:49]
	s_mov_b64 s[6:7], s[38:39]
	;; [unrolled: 1-line block ×3, first 2 shown]
	s_mov_b32 s12, s51
	s_mov_b32 s13, s50
	;; [unrolled: 1-line block ×3, first 2 shown]
	s_swappc_b64 s[30:31], s[16:17]
.LBB2_362:                              ;   in Loop: Header=BB2_90 Depth=1
	s_mov_b32 s4, 0
.LBB2_363:                              ;   in Loop: Header=BB2_90 Depth=1
	s_and_b32 vcc_lo, exec_lo, s4
	s_cbranch_vccz .LBB2_372
; %bb.364:                              ;   in Loop: Header=BB2_90 Depth=1
	s_sext_i32_i16 s4, s64
	s_cmp_lt_i32 s4, 61
	s_mov_b32 s4, -1
	s_cbranch_scc1 .LBB2_370
; %bb.365:                              ;   in Loop: Header=BB2_90 Depth=1
	s_cmp_lg_u32 s65, 61
	s_cbranch_scc0 .LBB2_367
; %bb.366:                              ;   in Loop: Header=BB2_90 Depth=1
	v_mov_b32_e32 v31, v40
	s_add_u32 s8, s36, 0x1000
	s_addc_u32 s9, s37, 0
	s_getpc_b64 s[16:17]
	s_add_u32 s16, s16, _Z48ncclDevFunc_ReduceScatter_RING_LL_Prod_u32_0_0_4v@rel32@lo+4
	s_addc_u32 s17, s17, _Z48ncclDevFunc_ReduceScatter_RING_LL_Prod_u32_0_0_4v@rel32@hi+12
	s_mov_b64 s[4:5], s[48:49]
	s_mov_b64 s[6:7], s[38:39]
	;; [unrolled: 1-line block ×3, first 2 shown]
	s_mov_b32 s12, s51
	s_mov_b32 s13, s50
	;; [unrolled: 1-line block ×3, first 2 shown]
	s_swappc_b64 s[30:31], s[16:17]
	s_mov_b32 s4, 0
.LBB2_367:                              ;   in Loop: Header=BB2_90 Depth=1
	s_andn2_b32 vcc_lo, exec_lo, s4
	s_cbranch_vccnz .LBB2_369
; %bb.368:                              ;   in Loop: Header=BB2_90 Depth=1
	v_mov_b32_e32 v31, v40
	s_add_u32 s8, s36, 0x1000
	s_addc_u32 s9, s37, 0
	s_getpc_b64 s[16:17]
	s_add_u32 s16, s16, _Z47ncclDevFunc_ReduceScatter_RING_LL_Prod_u8_0_0_4v@rel32@lo+4
	s_addc_u32 s17, s17, _Z47ncclDevFunc_ReduceScatter_RING_LL_Prod_u8_0_0_4v@rel32@hi+12
	s_mov_b64 s[4:5], s[48:49]
	s_mov_b64 s[6:7], s[38:39]
	;; [unrolled: 1-line block ×3, first 2 shown]
	s_mov_b32 s12, s51
	s_mov_b32 s13, s50
	;; [unrolled: 1-line block ×3, first 2 shown]
	s_swappc_b64 s[30:31], s[16:17]
.LBB2_369:                              ;   in Loop: Header=BB2_90 Depth=1
	s_mov_b32 s4, 0
.LBB2_370:                              ;   in Loop: Header=BB2_90 Depth=1
	s_andn2_b32 vcc_lo, exec_lo, s4
	s_cbranch_vccnz .LBB2_372
; %bb.371:                              ;   in Loop: Header=BB2_90 Depth=1
	v_mov_b32_e32 v31, v40
	s_add_u32 s8, s36, 0x1000
	s_addc_u32 s9, s37, 0
	s_getpc_b64 s[16:17]
	s_add_u32 s16, s16, _Z50ncclDevFunc_ReduceScatter_RING_LL_Sum_f8e5m2_0_0_4v@rel32@lo+4
	s_addc_u32 s17, s17, _Z50ncclDevFunc_ReduceScatter_RING_LL_Sum_f8e5m2_0_0_4v@rel32@hi+12
	s_mov_b64 s[4:5], s[48:49]
	s_mov_b64 s[6:7], s[38:39]
	;; [unrolled: 1-line block ×3, first 2 shown]
	s_mov_b32 s12, s51
	s_mov_b32 s13, s50
	;; [unrolled: 1-line block ×3, first 2 shown]
	s_swappc_b64 s[30:31], s[16:17]
.LBB2_372:                              ;   in Loop: Header=BB2_90 Depth=1
	s_mov_b32 s4, 0
.LBB2_373:                              ;   in Loop: Header=BB2_90 Depth=1
	s_andn2_b32 vcc_lo, exec_lo, s4
	s_cbranch_vccnz .LBB2_389
; %bb.374:                              ;   in Loop: Header=BB2_90 Depth=1
	s_cmp_gt_u32 s65, 56
	s_mov_b32 s4, -1
	s_cbranch_scc0 .LBB2_384
; %bb.375:                              ;   in Loop: Header=BB2_90 Depth=1
	s_sext_i32_i16 s4, s64
	s_cmp_lt_i32 s4, 58
	s_mov_b32 s4, -1
	s_cbranch_scc1 .LBB2_381
; %bb.376:                              ;   in Loop: Header=BB2_90 Depth=1
	s_cmp_lg_u32 s65, 58
	s_cbranch_scc0 .LBB2_378
; %bb.377:                              ;   in Loop: Header=BB2_90 Depth=1
	v_mov_b32_e32 v31, v40
	s_add_u32 s8, s36, 0x1000
	s_addc_u32 s9, s37, 0
	s_getpc_b64 s[16:17]
	s_add_u32 s16, s16, _Z50ncclDevFunc_ReduceScatter_RING_LL_Sum_f8e4m3_0_0_4v@rel32@lo+4
	s_addc_u32 s17, s17, _Z50ncclDevFunc_ReduceScatter_RING_LL_Sum_f8e4m3_0_0_4v@rel32@hi+12
	s_mov_b64 s[4:5], s[48:49]
	s_mov_b64 s[6:7], s[38:39]
	;; [unrolled: 1-line block ×3, first 2 shown]
	s_mov_b32 s12, s51
	s_mov_b32 s13, s50
	;; [unrolled: 1-line block ×3, first 2 shown]
	s_swappc_b64 s[30:31], s[16:17]
	s_mov_b32 s4, 0
.LBB2_378:                              ;   in Loop: Header=BB2_90 Depth=1
	s_andn2_b32 vcc_lo, exec_lo, s4
	s_cbranch_vccnz .LBB2_380
; %bb.379:                              ;   in Loop: Header=BB2_90 Depth=1
	v_mov_b32_e32 v31, v40
	s_add_u32 s8, s36, 0x1000
	s_addc_u32 s9, s37, 0
	s_getpc_b64 s[16:17]
	s_add_u32 s16, s16, _Z48ncclDevFunc_ReduceScatter_RING_LL_Sum_bf16_0_0_4v@rel32@lo+4
	s_addc_u32 s17, s17, _Z48ncclDevFunc_ReduceScatter_RING_LL_Sum_bf16_0_0_4v@rel32@hi+12
	s_mov_b64 s[4:5], s[48:49]
	s_mov_b64 s[6:7], s[38:39]
	;; [unrolled: 1-line block ×3, first 2 shown]
	s_mov_b32 s12, s51
	s_mov_b32 s13, s50
	s_mov_b32 s14, s33
	s_swappc_b64 s[30:31], s[16:17]
.LBB2_380:                              ;   in Loop: Header=BB2_90 Depth=1
	s_mov_b32 s4, 0
.LBB2_381:                              ;   in Loop: Header=BB2_90 Depth=1
	s_andn2_b32 vcc_lo, exec_lo, s4
	s_cbranch_vccnz .LBB2_383
; %bb.382:                              ;   in Loop: Header=BB2_90 Depth=1
	v_mov_b32_e32 v31, v40
	s_add_u32 s8, s36, 0x1000
	s_addc_u32 s9, s37, 0
	s_getpc_b64 s[16:17]
	s_add_u32 s16, s16, _Z47ncclDevFunc_ReduceScatter_RING_LL_Sum_f64_0_0_4v@rel32@lo+4
	s_addc_u32 s17, s17, _Z47ncclDevFunc_ReduceScatter_RING_LL_Sum_f64_0_0_4v@rel32@hi+12
	s_mov_b64 s[4:5], s[48:49]
	s_mov_b64 s[6:7], s[38:39]
	;; [unrolled: 1-line block ×3, first 2 shown]
	s_mov_b32 s12, s51
	s_mov_b32 s13, s50
	;; [unrolled: 1-line block ×3, first 2 shown]
	s_swappc_b64 s[30:31], s[16:17]
.LBB2_383:                              ;   in Loop: Header=BB2_90 Depth=1
	s_mov_b32 s4, 0
.LBB2_384:                              ;   in Loop: Header=BB2_90 Depth=1
	s_and_b32 vcc_lo, exec_lo, s4
	s_cbranch_vccz .LBB2_389
; %bb.385:                              ;   in Loop: Header=BB2_90 Depth=1
	s_cmp_eq_u32 s65, 56
	s_mov_b32 s4, -1
	s_cbranch_scc1 .LBB2_387
; %bb.386:                              ;   in Loop: Header=BB2_90 Depth=1
	v_mov_b32_e32 v31, v40
	s_add_u32 s8, s36, 0x1000
	s_addc_u32 s9, s37, 0
	s_getpc_b64 s[16:17]
	s_add_u32 s16, s16, _Z47ncclDevFunc_ReduceScatter_RING_LL_Sum_f16_0_0_4v@rel32@lo+4
	s_addc_u32 s17, s17, _Z47ncclDevFunc_ReduceScatter_RING_LL_Sum_f16_0_0_4v@rel32@hi+12
	s_mov_b64 s[4:5], s[48:49]
	s_mov_b64 s[6:7], s[38:39]
	;; [unrolled: 1-line block ×3, first 2 shown]
	s_mov_b32 s12, s51
	s_mov_b32 s13, s50
	;; [unrolled: 1-line block ×3, first 2 shown]
	s_swappc_b64 s[30:31], s[16:17]
	s_mov_b32 s4, 0
.LBB2_387:                              ;   in Loop: Header=BB2_90 Depth=1
	s_andn2_b32 vcc_lo, exec_lo, s4
	s_cbranch_vccnz .LBB2_389
; %bb.388:                              ;   in Loop: Header=BB2_90 Depth=1
	v_mov_b32_e32 v31, v40
	s_add_u32 s8, s36, 0x1000
	s_addc_u32 s9, s37, 0
	s_getpc_b64 s[16:17]
	s_add_u32 s16, s16, _Z47ncclDevFunc_ReduceScatter_RING_LL_Sum_f32_0_0_4v@rel32@lo+4
	s_addc_u32 s17, s17, _Z47ncclDevFunc_ReduceScatter_RING_LL_Sum_f32_0_0_4v@rel32@hi+12
	s_mov_b64 s[4:5], s[48:49]
	s_mov_b64 s[6:7], s[38:39]
	;; [unrolled: 1-line block ×3, first 2 shown]
	s_mov_b32 s12, s51
	s_mov_b32 s13, s50
	;; [unrolled: 1-line block ×3, first 2 shown]
	s_swappc_b64 s[30:31], s[16:17]
.LBB2_389:                              ;   in Loop: Header=BB2_90 Depth=1
	s_mov_b32 s4, 0
.LBB2_390:                              ;   in Loop: Header=BB2_90 Depth=1
	s_andn2_b32 vcc_lo, exec_lo, s4
	s_cbranch_vccnz .LBB2_420
; %bb.391:                              ;   in Loop: Header=BB2_90 Depth=1
	s_cmp_gt_u32 s65, 48
	s_mov_b32 s4, -1
	s_cbranch_scc0 .LBB2_408
; %bb.392:                              ;   in Loop: Header=BB2_90 Depth=1
	s_cmp_gt_u32 s65, 51
	s_cbranch_scc0 .LBB2_402
; %bb.393:                              ;   in Loop: Header=BB2_90 Depth=1
	s_sext_i32_i16 s4, s64
	s_cmp_lt_i32 s4, 53
	s_mov_b32 s4, -1
	s_cbranch_scc1 .LBB2_399
; %bb.394:                              ;   in Loop: Header=BB2_90 Depth=1
	s_cmp_lg_u32 s65, 53
	s_cbranch_scc0 .LBB2_396
; %bb.395:                              ;   in Loop: Header=BB2_90 Depth=1
	v_mov_b32_e32 v31, v40
	s_add_u32 s8, s36, 0x1000
	s_addc_u32 s9, s37, 0
	s_getpc_b64 s[16:17]
	s_add_u32 s16, s16, _Z47ncclDevFunc_ReduceScatter_RING_LL_Sum_u64_0_0_4v@rel32@lo+4
	s_addc_u32 s17, s17, _Z47ncclDevFunc_ReduceScatter_RING_LL_Sum_u64_0_0_4v@rel32@hi+12
	s_mov_b64 s[4:5], s[48:49]
	s_mov_b64 s[6:7], s[38:39]
	;; [unrolled: 1-line block ×3, first 2 shown]
	s_mov_b32 s12, s51
	s_mov_b32 s13, s50
	;; [unrolled: 1-line block ×3, first 2 shown]
	s_swappc_b64 s[30:31], s[16:17]
	s_mov_b32 s4, 0
.LBB2_396:                              ;   in Loop: Header=BB2_90 Depth=1
	s_andn2_b32 vcc_lo, exec_lo, s4
	s_cbranch_vccnz .LBB2_398
; %bb.397:                              ;   in Loop: Header=BB2_90 Depth=1
	v_mov_b32_e32 v31, v40
	s_add_u32 s8, s36, 0x1000
	s_addc_u32 s9, s37, 0
	s_getpc_b64 s[16:17]
	s_add_u32 s16, s16, _Z47ncclDevFunc_ReduceScatter_RING_LL_Sum_u32_0_0_4v@rel32@lo+4
	s_addc_u32 s17, s17, _Z47ncclDevFunc_ReduceScatter_RING_LL_Sum_u32_0_0_4v@rel32@hi+12
	s_mov_b64 s[4:5], s[48:49]
	s_mov_b64 s[6:7], s[38:39]
	;; [unrolled: 1-line block ×3, first 2 shown]
	s_mov_b32 s12, s51
	s_mov_b32 s13, s50
	;; [unrolled: 1-line block ×3, first 2 shown]
	s_swappc_b64 s[30:31], s[16:17]
.LBB2_398:                              ;   in Loop: Header=BB2_90 Depth=1
	s_mov_b32 s4, 0
.LBB2_399:                              ;   in Loop: Header=BB2_90 Depth=1
	s_andn2_b32 vcc_lo, exec_lo, s4
	s_cbranch_vccnz .LBB2_401
; %bb.400:                              ;   in Loop: Header=BB2_90 Depth=1
	v_mov_b32_e32 v31, v40
	s_add_u32 s8, s36, 0x1000
	s_addc_u32 s9, s37, 0
	s_getpc_b64 s[16:17]
	s_add_u32 s16, s16, _Z46ncclDevFunc_ReduceScatter_RING_LL_Sum_u8_0_0_4v@rel32@lo+4
	s_addc_u32 s17, s17, _Z46ncclDevFunc_ReduceScatter_RING_LL_Sum_u8_0_0_4v@rel32@hi+12
	s_mov_b64 s[4:5], s[48:49]
	s_mov_b64 s[6:7], s[38:39]
	;; [unrolled: 1-line block ×3, first 2 shown]
	s_mov_b32 s12, s51
	s_mov_b32 s13, s50
	;; [unrolled: 1-line block ×3, first 2 shown]
	s_swappc_b64 s[30:31], s[16:17]
.LBB2_401:                              ;   in Loop: Header=BB2_90 Depth=1
	s_mov_b32 s4, 0
.LBB2_402:                              ;   in Loop: Header=BB2_90 Depth=1
	s_and_b32 vcc_lo, exec_lo, s4
	s_cbranch_vccz .LBB2_407
; %bb.403:                              ;   in Loop: Header=BB2_90 Depth=1
	s_cmp_lg_u32 s65, 49
	s_mov_b32 s4, -1
	s_cbranch_scc0 .LBB2_405
; %bb.404:                              ;   in Loop: Header=BB2_90 Depth=1
	v_mov_b32_e32 v31, v40
	s_add_u32 s8, s36, 0x1000
	s_addc_u32 s9, s37, 0
	s_getpc_b64 s[16:17]
	s_add_u32 s16, s16, _Z45ncclDevFunc_AllGather_PAT_SIMPLE_Sum_i8_0_0_4v@rel32@lo+4
	s_addc_u32 s17, s17, _Z45ncclDevFunc_AllGather_PAT_SIMPLE_Sum_i8_0_0_4v@rel32@hi+12
	s_mov_b64 s[4:5], s[48:49]
	s_mov_b64 s[6:7], s[38:39]
	;; [unrolled: 1-line block ×3, first 2 shown]
	s_mov_b32 s12, s51
	s_mov_b32 s13, s50
	;; [unrolled: 1-line block ×3, first 2 shown]
	s_swappc_b64 s[30:31], s[16:17]
	s_mov_b32 s4, 0
.LBB2_405:                              ;   in Loop: Header=BB2_90 Depth=1
	s_andn2_b32 vcc_lo, exec_lo, s4
	s_cbranch_vccnz .LBB2_407
; %bb.406:                              ;   in Loop: Header=BB2_90 Depth=1
	v_mov_b32_e32 v31, v40
	s_add_u32 s8, s36, 0x1000
	s_addc_u32 s9, s37, 0
	s_getpc_b64 s[16:17]
	s_add_u32 s16, s16, _Z41ncclDevFunc_AllGather_PAT_LL_Sum_i8_0_0_4v@rel32@lo+4
	s_addc_u32 s17, s17, _Z41ncclDevFunc_AllGather_PAT_LL_Sum_i8_0_0_4v@rel32@hi+12
	s_mov_b64 s[4:5], s[48:49]
	s_mov_b64 s[6:7], s[38:39]
	;; [unrolled: 1-line block ×3, first 2 shown]
	s_mov_b32 s12, s51
	s_mov_b32 s13, s50
	;; [unrolled: 1-line block ×3, first 2 shown]
	s_swappc_b64 s[30:31], s[16:17]
.LBB2_407:                              ;   in Loop: Header=BB2_90 Depth=1
	s_mov_b32 s4, 0
.LBB2_408:                              ;   in Loop: Header=BB2_90 Depth=1
	s_andn2_b32 vcc_lo, exec_lo, s4
	s_cbranch_vccnz .LBB2_420
; %bb.409:                              ;   in Loop: Header=BB2_90 Depth=1
	s_cmp_gt_u32 s65, 45
	s_mov_b32 s4, -1
	s_cbranch_scc0 .LBB2_415
; %bb.410:                              ;   in Loop: Header=BB2_90 Depth=1
	s_cmp_lg_u32 s65, 46
	s_cbranch_scc0 .LBB2_412
; %bb.411:                              ;   in Loop: Header=BB2_90 Depth=1
	v_mov_b32_e32 v31, v40
	s_add_u32 s8, s36, 0x1000
	s_addc_u32 s9, s37, 0
	s_getpc_b64 s[16:17]
	s_add_u32 s16, s16, _Z46ncclDevFunc_AllGather_RING_SIMPLE_Sum_i8_0_0_4v@rel32@lo+4
	s_addc_u32 s17, s17, _Z46ncclDevFunc_AllGather_RING_SIMPLE_Sum_i8_0_0_4v@rel32@hi+12
	s_mov_b64 s[4:5], s[48:49]
	s_mov_b64 s[6:7], s[38:39]
	;; [unrolled: 1-line block ×3, first 2 shown]
	s_mov_b32 s12, s51
	s_mov_b32 s13, s50
	;; [unrolled: 1-line block ×3, first 2 shown]
	s_swappc_b64 s[30:31], s[16:17]
	s_mov_b32 s4, 0
.LBB2_412:                              ;   in Loop: Header=BB2_90 Depth=1
	s_andn2_b32 vcc_lo, exec_lo, s4
	s_cbranch_vccnz .LBB2_414
; %bb.413:                              ;   in Loop: Header=BB2_90 Depth=1
	v_mov_b32_e32 v31, v40
	s_add_u32 s8, s36, 0x1000
	s_addc_u32 s9, s37, 0
	s_getpc_b64 s[16:17]
	s_add_u32 s16, s16, _Z42ncclDevFunc_AllGather_RING_LL_Sum_i8_0_0_4v@rel32@lo+4
	s_addc_u32 s17, s17, _Z42ncclDevFunc_AllGather_RING_LL_Sum_i8_0_0_4v@rel32@hi+12
	s_mov_b64 s[4:5], s[48:49]
	s_mov_b64 s[6:7], s[38:39]
	;; [unrolled: 1-line block ×3, first 2 shown]
	s_mov_b32 s12, s51
	s_mov_b32 s13, s50
	;; [unrolled: 1-line block ×3, first 2 shown]
	s_swappc_b64 s[30:31], s[16:17]
.LBB2_414:                              ;   in Loop: Header=BB2_90 Depth=1
	s_mov_b32 s4, 0
.LBB2_415:                              ;   in Loop: Header=BB2_90 Depth=1
	s_andn2_b32 vcc_lo, exec_lo, s4
	s_cbranch_vccnz .LBB2_420
; %bb.416:                              ;   in Loop: Header=BB2_90 Depth=1
	s_cmp_eq_u32 s65, 45
	s_mov_b32 s4, -1
	s_cbranch_scc1 .LBB2_418
; %bb.417:                              ;   in Loop: Header=BB2_90 Depth=1
	v_mov_b32_e32 v31, v40
	s_add_u32 s8, s36, 0x1000
	s_addc_u32 s9, s37, 0
	s_getpc_b64 s[16:17]
	s_add_u32 s16, s16, _Z51ncclDevFunc_Reduce_RING_SIMPLE_SumPostDiv_u32_0_0_4v@rel32@lo+4
	s_addc_u32 s17, s17, _Z51ncclDevFunc_Reduce_RING_SIMPLE_SumPostDiv_u32_0_0_4v@rel32@hi+12
	s_mov_b64 s[4:5], s[48:49]
	s_mov_b64 s[6:7], s[38:39]
	;; [unrolled: 1-line block ×3, first 2 shown]
	s_mov_b32 s12, s51
	s_mov_b32 s13, s50
	;; [unrolled: 1-line block ×3, first 2 shown]
	s_swappc_b64 s[30:31], s[16:17]
	s_mov_b32 s4, 0
.LBB2_418:                              ;   in Loop: Header=BB2_90 Depth=1
	s_andn2_b32 vcc_lo, exec_lo, s4
	s_cbranch_vccnz .LBB2_420
; %bb.419:                              ;   in Loop: Header=BB2_90 Depth=1
	v_mov_b32_e32 v31, v40
	s_add_u32 s8, s36, 0x1000
	s_addc_u32 s9, s37, 0
	s_getpc_b64 s[16:17]
	s_add_u32 s16, s16, _Z51ncclDevFunc_Reduce_RING_SIMPLE_SumPostDiv_u64_0_0_4v@rel32@lo+4
	s_addc_u32 s17, s17, _Z51ncclDevFunc_Reduce_RING_SIMPLE_SumPostDiv_u64_0_0_4v@rel32@hi+12
	s_mov_b64 s[4:5], s[48:49]
	s_mov_b64 s[6:7], s[38:39]
	;; [unrolled: 1-line block ×3, first 2 shown]
	s_mov_b32 s12, s51
	s_mov_b32 s13, s50
	;; [unrolled: 1-line block ×3, first 2 shown]
	s_swappc_b64 s[30:31], s[16:17]
.LBB2_420:                              ;   in Loop: Header=BB2_90 Depth=1
	s_mov_b32 s4, 0
.LBB2_421:                              ;   in Loop: Header=BB2_90 Depth=1
	s_andn2_b32 vcc_lo, exec_lo, s4
	s_cbranch_vccnz .LBB2_576
; %bb.422:                              ;   in Loop: Header=BB2_90 Depth=1
	s_cmp_gt_u32 s65, 21
	s_mov_b32 s4, -1
	s_cbranch_scc0 .LBB2_501
; %bb.423:                              ;   in Loop: Header=BB2_90 Depth=1
	s_cmp_gt_u32 s65, 32
	s_cbranch_scc0 .LBB2_462
; %bb.424:                              ;   in Loop: Header=BB2_90 Depth=1
	s_cmp_gt_u32 s65, 37
	;; [unrolled: 3-line block ×3, first 2 shown]
	s_cbranch_scc0 .LBB2_435
; %bb.426:                              ;   in Loop: Header=BB2_90 Depth=1
	s_sext_i32_i16 s4, s64
	s_cmp_lt_i32 s4, 42
	s_mov_b32 s4, -1
	s_cbranch_scc1 .LBB2_432
; %bb.427:                              ;   in Loop: Header=BB2_90 Depth=1
	s_cmp_lg_u32 s65, 42
	s_cbranch_scc0 .LBB2_429
; %bb.428:                              ;   in Loop: Header=BB2_90 Depth=1
	v_mov_b32_e32 v31, v40
	s_add_u32 s8, s36, 0x1000
	s_addc_u32 s9, s37, 0
	s_getpc_b64 s[16:17]
	s_add_u32 s16, s16, _Z50ncclDevFunc_Reduce_RING_SIMPLE_SumPostDiv_u8_0_0_4v@rel32@lo+4
	s_addc_u32 s17, s17, _Z50ncclDevFunc_Reduce_RING_SIMPLE_SumPostDiv_u8_0_0_4v@rel32@hi+12
	s_mov_b64 s[4:5], s[48:49]
	s_mov_b64 s[6:7], s[38:39]
	;; [unrolled: 1-line block ×3, first 2 shown]
	s_mov_b32 s12, s51
	s_mov_b32 s13, s50
	;; [unrolled: 1-line block ×3, first 2 shown]
	s_swappc_b64 s[30:31], s[16:17]
	s_mov_b32 s4, 0
.LBB2_429:                              ;   in Loop: Header=BB2_90 Depth=1
	s_andn2_b32 vcc_lo, exec_lo, s4
	s_cbranch_vccnz .LBB2_431
; %bb.430:                              ;   in Loop: Header=BB2_90 Depth=1
	v_mov_b32_e32 v31, v40
	s_add_u32 s8, s36, 0x1000
	s_addc_u32 s9, s37, 0
	s_getpc_b64 s[16:17]
	s_add_u32 s16, s16, _Z53ncclDevFunc_Reduce_RING_SIMPLE_PreMulSum_f8e5m2_0_0_4v@rel32@lo+4
	s_addc_u32 s17, s17, _Z53ncclDevFunc_Reduce_RING_SIMPLE_PreMulSum_f8e5m2_0_0_4v@rel32@hi+12
	s_mov_b64 s[4:5], s[48:49]
	s_mov_b64 s[6:7], s[38:39]
	;; [unrolled: 1-line block ×3, first 2 shown]
	s_mov_b32 s12, s51
	s_mov_b32 s13, s50
	;; [unrolled: 1-line block ×3, first 2 shown]
	s_swappc_b64 s[30:31], s[16:17]
.LBB2_431:                              ;   in Loop: Header=BB2_90 Depth=1
	s_mov_b32 s4, 0
.LBB2_432:                              ;   in Loop: Header=BB2_90 Depth=1
	s_andn2_b32 vcc_lo, exec_lo, s4
	s_cbranch_vccnz .LBB2_434
; %bb.433:                              ;   in Loop: Header=BB2_90 Depth=1
	v_mov_b32_e32 v31, v40
	s_add_u32 s8, s36, 0x1000
	s_addc_u32 s9, s37, 0
	s_getpc_b64 s[16:17]
	s_add_u32 s16, s16, _Z53ncclDevFunc_Reduce_RING_SIMPLE_PreMulSum_f8e4m3_0_0_4v@rel32@lo+4
	s_addc_u32 s17, s17, _Z53ncclDevFunc_Reduce_RING_SIMPLE_PreMulSum_f8e4m3_0_0_4v@rel32@hi+12
	s_mov_b64 s[4:5], s[48:49]
	s_mov_b64 s[6:7], s[38:39]
	;; [unrolled: 1-line block ×3, first 2 shown]
	s_mov_b32 s12, s51
	s_mov_b32 s13, s50
	;; [unrolled: 1-line block ×3, first 2 shown]
	s_swappc_b64 s[30:31], s[16:17]
.LBB2_434:                              ;   in Loop: Header=BB2_90 Depth=1
	s_mov_b32 s4, 0
.LBB2_435:                              ;   in Loop: Header=BB2_90 Depth=1
	s_and_b32 vcc_lo, exec_lo, s4
	s_cbranch_vccz .LBB2_444
; %bb.436:                              ;   in Loop: Header=BB2_90 Depth=1
	s_sext_i32_i16 s4, s64
	s_cmp_lt_i32 s4, 39
	s_mov_b32 s4, -1
	s_cbranch_scc1 .LBB2_442
; %bb.437:                              ;   in Loop: Header=BB2_90 Depth=1
	s_cmp_lg_u32 s65, 39
	s_cbranch_scc0 .LBB2_439
; %bb.438:                              ;   in Loop: Header=BB2_90 Depth=1
	v_mov_b32_e32 v31, v40
	s_add_u32 s8, s36, 0x1000
	s_addc_u32 s9, s37, 0
	s_getpc_b64 s[16:17]
	s_add_u32 s16, s16, _Z51ncclDevFunc_Reduce_RING_SIMPLE_PreMulSum_bf16_0_1_4v@rel32@lo+4
	s_addc_u32 s17, s17, _Z51ncclDevFunc_Reduce_RING_SIMPLE_PreMulSum_bf16_0_1_4v@rel32@hi+12
	s_mov_b64 s[4:5], s[48:49]
	s_mov_b64 s[6:7], s[38:39]
	;; [unrolled: 1-line block ×3, first 2 shown]
	s_mov_b32 s12, s51
	s_mov_b32 s13, s50
	;; [unrolled: 1-line block ×3, first 2 shown]
	s_swappc_b64 s[30:31], s[16:17]
	s_mov_b32 s4, 0
.LBB2_439:                              ;   in Loop: Header=BB2_90 Depth=1
	s_andn2_b32 vcc_lo, exec_lo, s4
	s_cbranch_vccnz .LBB2_441
; %bb.440:                              ;   in Loop: Header=BB2_90 Depth=1
	v_mov_b32_e32 v31, v40
	s_add_u32 s8, s36, 0x1000
	s_addc_u32 s9, s37, 0
	s_getpc_b64 s[16:17]
	s_add_u32 s16, s16, _Z51ncclDevFunc_Reduce_RING_SIMPLE_PreMulSum_bf16_0_0_4v@rel32@lo+4
	s_addc_u32 s17, s17, _Z51ncclDevFunc_Reduce_RING_SIMPLE_PreMulSum_bf16_0_0_4v@rel32@hi+12
	s_mov_b64 s[4:5], s[48:49]
	s_mov_b64 s[6:7], s[38:39]
	;; [unrolled: 1-line block ×3, first 2 shown]
	s_mov_b32 s12, s51
	s_mov_b32 s13, s50
	;; [unrolled: 1-line block ×3, first 2 shown]
	s_swappc_b64 s[30:31], s[16:17]
.LBB2_441:                              ;   in Loop: Header=BB2_90 Depth=1
	s_mov_b32 s4, 0
.LBB2_442:                              ;   in Loop: Header=BB2_90 Depth=1
	s_andn2_b32 vcc_lo, exec_lo, s4
	s_cbranch_vccnz .LBB2_444
; %bb.443:                              ;   in Loop: Header=BB2_90 Depth=1
	v_mov_b32_e32 v31, v40
	s_add_u32 s8, s36, 0x1000
	s_addc_u32 s9, s37, 0
	s_getpc_b64 s[16:17]
	s_add_u32 s16, s16, _Z50ncclDevFunc_Reduce_RING_SIMPLE_PreMulSum_f64_0_0_4v@rel32@lo+4
	s_addc_u32 s17, s17, _Z50ncclDevFunc_Reduce_RING_SIMPLE_PreMulSum_f64_0_0_4v@rel32@hi+12
	s_mov_b64 s[4:5], s[48:49]
	s_mov_b64 s[6:7], s[38:39]
	s_mov_b64 s[10:11], s[34:35]
	s_mov_b32 s12, s51
	s_mov_b32 s13, s50
	;; [unrolled: 1-line block ×3, first 2 shown]
	s_swappc_b64 s[30:31], s[16:17]
.LBB2_444:                              ;   in Loop: Header=BB2_90 Depth=1
	s_mov_b32 s4, 0
.LBB2_445:                              ;   in Loop: Header=BB2_90 Depth=1
	s_andn2_b32 vcc_lo, exec_lo, s4
	s_cbranch_vccnz .LBB2_461
; %bb.446:                              ;   in Loop: Header=BB2_90 Depth=1
	s_cmp_gt_u32 s65, 34
	s_mov_b32 s4, -1
	s_cbranch_scc0 .LBB2_456
; %bb.447:                              ;   in Loop: Header=BB2_90 Depth=1
	s_sext_i32_i16 s4, s64
	s_cmp_lt_i32 s4, 36
	s_mov_b32 s4, -1
	s_cbranch_scc1 .LBB2_453
; %bb.448:                              ;   in Loop: Header=BB2_90 Depth=1
	s_cmp_lg_u32 s65, 36
	s_cbranch_scc0 .LBB2_450
; %bb.449:                              ;   in Loop: Header=BB2_90 Depth=1
	v_mov_b32_e32 v31, v40
	s_add_u32 s8, s36, 0x1000
	s_addc_u32 s9, s37, 0
	s_getpc_b64 s[16:17]
	s_add_u32 s16, s16, _Z50ncclDevFunc_Reduce_RING_SIMPLE_PreMulSum_f32_0_0_4v@rel32@lo+4
	s_addc_u32 s17, s17, _Z50ncclDevFunc_Reduce_RING_SIMPLE_PreMulSum_f32_0_0_4v@rel32@hi+12
	s_mov_b64 s[4:5], s[48:49]
	s_mov_b64 s[6:7], s[38:39]
	;; [unrolled: 1-line block ×3, first 2 shown]
	s_mov_b32 s12, s51
	s_mov_b32 s13, s50
	;; [unrolled: 1-line block ×3, first 2 shown]
	s_swappc_b64 s[30:31], s[16:17]
	s_mov_b32 s4, 0
.LBB2_450:                              ;   in Loop: Header=BB2_90 Depth=1
	s_andn2_b32 vcc_lo, exec_lo, s4
	s_cbranch_vccnz .LBB2_452
; %bb.451:                              ;   in Loop: Header=BB2_90 Depth=1
	v_mov_b32_e32 v31, v40
	s_add_u32 s8, s36, 0x1000
	s_addc_u32 s9, s37, 0
	s_getpc_b64 s[16:17]
	s_add_u32 s16, s16, _Z50ncclDevFunc_Reduce_RING_SIMPLE_PreMulSum_f16_0_0_4v@rel32@lo+4
	s_addc_u32 s17, s17, _Z50ncclDevFunc_Reduce_RING_SIMPLE_PreMulSum_f16_0_0_4v@rel32@hi+12
	s_mov_b64 s[4:5], s[48:49]
	s_mov_b64 s[6:7], s[38:39]
	;; [unrolled: 1-line block ×3, first 2 shown]
	s_mov_b32 s12, s51
	s_mov_b32 s13, s50
	;; [unrolled: 1-line block ×3, first 2 shown]
	s_swappc_b64 s[30:31], s[16:17]
.LBB2_452:                              ;   in Loop: Header=BB2_90 Depth=1
	s_mov_b32 s4, 0
.LBB2_453:                              ;   in Loop: Header=BB2_90 Depth=1
	s_andn2_b32 vcc_lo, exec_lo, s4
	s_cbranch_vccnz .LBB2_455
; %bb.454:                              ;   in Loop: Header=BB2_90 Depth=1
	v_mov_b32_e32 v31, v40
	s_add_u32 s8, s36, 0x1000
	s_addc_u32 s9, s37, 0
	s_getpc_b64 s[16:17]
	s_add_u32 s16, s16, _Z50ncclDevFunc_Reduce_RING_SIMPLE_PreMulSum_u64_0_0_4v@rel32@lo+4
	s_addc_u32 s17, s17, _Z50ncclDevFunc_Reduce_RING_SIMPLE_PreMulSum_u64_0_0_4v@rel32@hi+12
	s_mov_b64 s[4:5], s[48:49]
	s_mov_b64 s[6:7], s[38:39]
	;; [unrolled: 1-line block ×3, first 2 shown]
	s_mov_b32 s12, s51
	s_mov_b32 s13, s50
	;; [unrolled: 1-line block ×3, first 2 shown]
	s_swappc_b64 s[30:31], s[16:17]
.LBB2_455:                              ;   in Loop: Header=BB2_90 Depth=1
	s_mov_b32 s4, 0
.LBB2_456:                              ;   in Loop: Header=BB2_90 Depth=1
	s_and_b32 vcc_lo, exec_lo, s4
	s_cbranch_vccz .LBB2_461
; %bb.457:                              ;   in Loop: Header=BB2_90 Depth=1
	s_cmp_eq_u32 s65, 34
	s_mov_b32 s4, -1
	s_cbranch_scc1 .LBB2_459
; %bb.458:                              ;   in Loop: Header=BB2_90 Depth=1
	v_mov_b32_e32 v31, v40
	s_add_u32 s8, s36, 0x1000
	s_addc_u32 s9, s37, 0
	s_getpc_b64 s[16:17]
	s_add_u32 s16, s16, _Z49ncclDevFunc_Reduce_RING_SIMPLE_PreMulSum_u8_0_0_4v@rel32@lo+4
	s_addc_u32 s17, s17, _Z49ncclDevFunc_Reduce_RING_SIMPLE_PreMulSum_u8_0_0_4v@rel32@hi+12
	s_mov_b64 s[4:5], s[48:49]
	s_mov_b64 s[6:7], s[38:39]
	;; [unrolled: 1-line block ×3, first 2 shown]
	s_mov_b32 s12, s51
	s_mov_b32 s13, s50
	;; [unrolled: 1-line block ×3, first 2 shown]
	s_swappc_b64 s[30:31], s[16:17]
	s_mov_b32 s4, 0
.LBB2_459:                              ;   in Loop: Header=BB2_90 Depth=1
	s_andn2_b32 vcc_lo, exec_lo, s4
	s_cbranch_vccnz .LBB2_461
; %bb.460:                              ;   in Loop: Header=BB2_90 Depth=1
	v_mov_b32_e32 v31, v40
	s_add_u32 s8, s36, 0x1000
	s_addc_u32 s9, s37, 0
	s_getpc_b64 s[16:17]
	s_add_u32 s16, s16, _Z50ncclDevFunc_Reduce_RING_SIMPLE_PreMulSum_u32_0_0_4v@rel32@lo+4
	s_addc_u32 s17, s17, _Z50ncclDevFunc_Reduce_RING_SIMPLE_PreMulSum_u32_0_0_4v@rel32@hi+12
	s_mov_b64 s[4:5], s[48:49]
	s_mov_b64 s[6:7], s[38:39]
	;; [unrolled: 1-line block ×3, first 2 shown]
	s_mov_b32 s12, s51
	s_mov_b32 s13, s50
	;; [unrolled: 1-line block ×3, first 2 shown]
	s_swappc_b64 s[30:31], s[16:17]
.LBB2_461:                              ;   in Loop: Header=BB2_90 Depth=1
	s_mov_b32 s4, 0
.LBB2_462:                              ;   in Loop: Header=BB2_90 Depth=1
	s_andn2_b32 vcc_lo, exec_lo, s4
	s_cbranch_vccnz .LBB2_500
; %bb.463:                              ;   in Loop: Header=BB2_90 Depth=1
	s_cmp_gt_u32 s65, 26
	s_mov_b32 s4, -1
	s_cbranch_scc0 .LBB2_484
; %bb.464:                              ;   in Loop: Header=BB2_90 Depth=1
	s_cmp_gt_u32 s65, 29
	s_cbranch_scc0 .LBB2_474
; %bb.465:                              ;   in Loop: Header=BB2_90 Depth=1
	s_sext_i32_i16 s4, s64
	s_cmp_lt_i32 s4, 31
	s_mov_b32 s4, -1
	s_cbranch_scc1 .LBB2_471
; %bb.466:                              ;   in Loop: Header=BB2_90 Depth=1
	s_cmp_lg_u32 s65, 31
	s_cbranch_scc0 .LBB2_468
; %bb.467:                              ;   in Loop: Header=BB2_90 Depth=1
	v_mov_b32_e32 v31, v40
	s_add_u32 s8, s36, 0x1000
	s_addc_u32 s9, s37, 0
	s_getpc_b64 s[16:17]
	s_add_u32 s16, s16, _Z50ncclDevFunc_Reduce_RING_SIMPLE_MinMax_f8e5m2_0_0_4v@rel32@lo+4
	s_addc_u32 s17, s17, _Z50ncclDevFunc_Reduce_RING_SIMPLE_MinMax_f8e5m2_0_0_4v@rel32@hi+12
	s_mov_b64 s[4:5], s[48:49]
	s_mov_b64 s[6:7], s[38:39]
	;; [unrolled: 1-line block ×3, first 2 shown]
	s_mov_b32 s12, s51
	s_mov_b32 s13, s50
	;; [unrolled: 1-line block ×3, first 2 shown]
	s_swappc_b64 s[30:31], s[16:17]
	s_mov_b32 s4, 0
.LBB2_468:                              ;   in Loop: Header=BB2_90 Depth=1
	s_andn2_b32 vcc_lo, exec_lo, s4
	s_cbranch_vccnz .LBB2_470
; %bb.469:                              ;   in Loop: Header=BB2_90 Depth=1
	v_mov_b32_e32 v31, v40
	s_add_u32 s8, s36, 0x1000
	s_addc_u32 s9, s37, 0
	s_getpc_b64 s[16:17]
	s_add_u32 s16, s16, _Z50ncclDevFunc_Reduce_RING_SIMPLE_MinMax_f8e4m3_0_0_4v@rel32@lo+4
	s_addc_u32 s17, s17, _Z50ncclDevFunc_Reduce_RING_SIMPLE_MinMax_f8e4m3_0_0_4v@rel32@hi+12
	s_mov_b64 s[4:5], s[48:49]
	s_mov_b64 s[6:7], s[38:39]
	;; [unrolled: 1-line block ×3, first 2 shown]
	s_mov_b32 s12, s51
	s_mov_b32 s13, s50
	;; [unrolled: 1-line block ×3, first 2 shown]
	s_swappc_b64 s[30:31], s[16:17]
.LBB2_470:                              ;   in Loop: Header=BB2_90 Depth=1
	s_mov_b32 s4, 0
.LBB2_471:                              ;   in Loop: Header=BB2_90 Depth=1
	s_andn2_b32 vcc_lo, exec_lo, s4
	s_cbranch_vccnz .LBB2_473
; %bb.472:                              ;   in Loop: Header=BB2_90 Depth=1
	v_mov_b32_e32 v31, v40
	s_add_u32 s8, s36, 0x1000
	s_addc_u32 s9, s37, 0
	s_getpc_b64 s[16:17]
	s_add_u32 s16, s16, _Z48ncclDevFunc_Reduce_RING_SIMPLE_MinMax_bf16_0_1_4v@rel32@lo+4
	s_addc_u32 s17, s17, _Z48ncclDevFunc_Reduce_RING_SIMPLE_MinMax_bf16_0_1_4v@rel32@hi+12
	s_mov_b64 s[4:5], s[48:49]
	s_mov_b64 s[6:7], s[38:39]
	;; [unrolled: 1-line block ×3, first 2 shown]
	s_mov_b32 s12, s51
	s_mov_b32 s13, s50
	;; [unrolled: 1-line block ×3, first 2 shown]
	s_swappc_b64 s[30:31], s[16:17]
.LBB2_473:                              ;   in Loop: Header=BB2_90 Depth=1
	s_mov_b32 s4, 0
.LBB2_474:                              ;   in Loop: Header=BB2_90 Depth=1
	s_and_b32 vcc_lo, exec_lo, s4
	s_cbranch_vccz .LBB2_483
; %bb.475:                              ;   in Loop: Header=BB2_90 Depth=1
	s_sext_i32_i16 s4, s64
	s_cmp_lt_i32 s4, 28
	s_mov_b32 s4, -1
	s_cbranch_scc1 .LBB2_481
; %bb.476:                              ;   in Loop: Header=BB2_90 Depth=1
	s_cmp_lg_u32 s65, 28
	s_cbranch_scc0 .LBB2_478
; %bb.477:                              ;   in Loop: Header=BB2_90 Depth=1
	v_mov_b32_e32 v31, v40
	s_add_u32 s8, s36, 0x1000
	s_addc_u32 s9, s37, 0
	s_getpc_b64 s[16:17]
	s_add_u32 s16, s16, _Z48ncclDevFunc_Reduce_RING_SIMPLE_MinMax_bf16_0_0_4v@rel32@lo+4
	s_addc_u32 s17, s17, _Z48ncclDevFunc_Reduce_RING_SIMPLE_MinMax_bf16_0_0_4v@rel32@hi+12
	s_mov_b64 s[4:5], s[48:49]
	s_mov_b64 s[6:7], s[38:39]
	;; [unrolled: 1-line block ×3, first 2 shown]
	s_mov_b32 s12, s51
	s_mov_b32 s13, s50
	;; [unrolled: 1-line block ×3, first 2 shown]
	s_swappc_b64 s[30:31], s[16:17]
	s_mov_b32 s4, 0
.LBB2_478:                              ;   in Loop: Header=BB2_90 Depth=1
	s_andn2_b32 vcc_lo, exec_lo, s4
	s_cbranch_vccnz .LBB2_480
; %bb.479:                              ;   in Loop: Header=BB2_90 Depth=1
	v_mov_b32_e32 v31, v40
	s_add_u32 s8, s36, 0x1000
	s_addc_u32 s9, s37, 0
	s_getpc_b64 s[16:17]
	s_add_u32 s16, s16, _Z47ncclDevFunc_Reduce_RING_SIMPLE_MinMax_f64_0_0_4v@rel32@lo+4
	s_addc_u32 s17, s17, _Z47ncclDevFunc_Reduce_RING_SIMPLE_MinMax_f64_0_0_4v@rel32@hi+12
	s_mov_b64 s[4:5], s[48:49]
	s_mov_b64 s[6:7], s[38:39]
	;; [unrolled: 1-line block ×3, first 2 shown]
	s_mov_b32 s12, s51
	s_mov_b32 s13, s50
	;; [unrolled: 1-line block ×3, first 2 shown]
	s_swappc_b64 s[30:31], s[16:17]
.LBB2_480:                              ;   in Loop: Header=BB2_90 Depth=1
	s_mov_b32 s4, 0
.LBB2_481:                              ;   in Loop: Header=BB2_90 Depth=1
	s_andn2_b32 vcc_lo, exec_lo, s4
	s_cbranch_vccnz .LBB2_483
; %bb.482:                              ;   in Loop: Header=BB2_90 Depth=1
	v_mov_b32_e32 v31, v40
	s_add_u32 s8, s36, 0x1000
	s_addc_u32 s9, s37, 0
	s_getpc_b64 s[16:17]
	s_add_u32 s16, s16, _Z47ncclDevFunc_Reduce_RING_SIMPLE_MinMax_f32_0_0_4v@rel32@lo+4
	s_addc_u32 s17, s17, _Z47ncclDevFunc_Reduce_RING_SIMPLE_MinMax_f32_0_0_4v@rel32@hi+12
	s_mov_b64 s[4:5], s[48:49]
	s_mov_b64 s[6:7], s[38:39]
	;; [unrolled: 1-line block ×3, first 2 shown]
	s_mov_b32 s12, s51
	s_mov_b32 s13, s50
	;; [unrolled: 1-line block ×3, first 2 shown]
	s_swappc_b64 s[30:31], s[16:17]
.LBB2_483:                              ;   in Loop: Header=BB2_90 Depth=1
	s_mov_b32 s4, 0
.LBB2_484:                              ;   in Loop: Header=BB2_90 Depth=1
	s_andn2_b32 vcc_lo, exec_lo, s4
	s_cbranch_vccnz .LBB2_500
; %bb.485:                              ;   in Loop: Header=BB2_90 Depth=1
	s_cmp_gt_u32 s65, 23
	s_mov_b32 s4, -1
	s_cbranch_scc0 .LBB2_495
; %bb.486:                              ;   in Loop: Header=BB2_90 Depth=1
	s_sext_i32_i16 s4, s64
	s_cmp_lt_i32 s4, 25
	s_mov_b32 s4, -1
	s_cbranch_scc1 .LBB2_492
; %bb.487:                              ;   in Loop: Header=BB2_90 Depth=1
	s_cmp_lg_u32 s65, 25
	s_cbranch_scc0 .LBB2_489
; %bb.488:                              ;   in Loop: Header=BB2_90 Depth=1
	v_mov_b32_e32 v31, v40
	s_add_u32 s8, s36, 0x1000
	s_addc_u32 s9, s37, 0
	s_getpc_b64 s[16:17]
	s_add_u32 s16, s16, _Z47ncclDevFunc_Reduce_RING_SIMPLE_MinMax_f16_0_0_4v@rel32@lo+4
	s_addc_u32 s17, s17, _Z47ncclDevFunc_Reduce_RING_SIMPLE_MinMax_f16_0_0_4v@rel32@hi+12
	s_mov_b64 s[4:5], s[48:49]
	s_mov_b64 s[6:7], s[38:39]
	;; [unrolled: 1-line block ×3, first 2 shown]
	s_mov_b32 s12, s51
	s_mov_b32 s13, s50
	;; [unrolled: 1-line block ×3, first 2 shown]
	s_swappc_b64 s[30:31], s[16:17]
	s_mov_b32 s4, 0
.LBB2_489:                              ;   in Loop: Header=BB2_90 Depth=1
	s_andn2_b32 vcc_lo, exec_lo, s4
	s_cbranch_vccnz .LBB2_491
; %bb.490:                              ;   in Loop: Header=BB2_90 Depth=1
	v_mov_b32_e32 v31, v40
	s_add_u32 s8, s36, 0x1000
	s_addc_u32 s9, s37, 0
	s_getpc_b64 s[16:17]
	s_add_u32 s16, s16, _Z47ncclDevFunc_Reduce_RING_SIMPLE_MinMax_u64_0_0_4v@rel32@lo+4
	s_addc_u32 s17, s17, _Z47ncclDevFunc_Reduce_RING_SIMPLE_MinMax_u64_0_0_4v@rel32@hi+12
	s_mov_b64 s[4:5], s[48:49]
	s_mov_b64 s[6:7], s[38:39]
	;; [unrolled: 1-line block ×3, first 2 shown]
	s_mov_b32 s12, s51
	s_mov_b32 s13, s50
	;; [unrolled: 1-line block ×3, first 2 shown]
	s_swappc_b64 s[30:31], s[16:17]
.LBB2_491:                              ;   in Loop: Header=BB2_90 Depth=1
	s_mov_b32 s4, 0
.LBB2_492:                              ;   in Loop: Header=BB2_90 Depth=1
	s_andn2_b32 vcc_lo, exec_lo, s4
	s_cbranch_vccnz .LBB2_494
; %bb.493:                              ;   in Loop: Header=BB2_90 Depth=1
	v_mov_b32_e32 v31, v40
	s_add_u32 s8, s36, 0x1000
	s_addc_u32 s9, s37, 0
	s_getpc_b64 s[16:17]
	s_add_u32 s16, s16, _Z47ncclDevFunc_Reduce_RING_SIMPLE_MinMax_u32_0_0_4v@rel32@lo+4
	s_addc_u32 s17, s17, _Z47ncclDevFunc_Reduce_RING_SIMPLE_MinMax_u32_0_0_4v@rel32@hi+12
	s_mov_b64 s[4:5], s[48:49]
	s_mov_b64 s[6:7], s[38:39]
	s_mov_b64 s[10:11], s[34:35]
	s_mov_b32 s12, s51
	s_mov_b32 s13, s50
	;; [unrolled: 1-line block ×3, first 2 shown]
	s_swappc_b64 s[30:31], s[16:17]
.LBB2_494:                              ;   in Loop: Header=BB2_90 Depth=1
	s_mov_b32 s4, 0
.LBB2_495:                              ;   in Loop: Header=BB2_90 Depth=1
	s_and_b32 vcc_lo, exec_lo, s4
	s_cbranch_vccz .LBB2_500
; %bb.496:                              ;   in Loop: Header=BB2_90 Depth=1
	s_cmp_eq_u32 s65, 23
	s_mov_b32 s4, -1
	s_cbranch_scc1 .LBB2_498
; %bb.497:                              ;   in Loop: Header=BB2_90 Depth=1
	v_mov_b32_e32 v31, v40
	s_add_u32 s8, s36, 0x1000
	s_addc_u32 s9, s37, 0
	s_getpc_b64 s[16:17]
	s_add_u32 s16, s16, _Z48ncclDevFunc_Reduce_RING_SIMPLE_Prod_f8e5m2_0_0_4v@rel32@lo+4
	s_addc_u32 s17, s17, _Z48ncclDevFunc_Reduce_RING_SIMPLE_Prod_f8e5m2_0_0_4v@rel32@hi+12
	s_mov_b64 s[4:5], s[48:49]
	s_mov_b64 s[6:7], s[38:39]
	s_mov_b64 s[10:11], s[34:35]
	s_mov_b32 s12, s51
	s_mov_b32 s13, s50
	;; [unrolled: 1-line block ×3, first 2 shown]
	s_swappc_b64 s[30:31], s[16:17]
	s_mov_b32 s4, 0
.LBB2_498:                              ;   in Loop: Header=BB2_90 Depth=1
	s_andn2_b32 vcc_lo, exec_lo, s4
	s_cbranch_vccnz .LBB2_500
; %bb.499:                              ;   in Loop: Header=BB2_90 Depth=1
	v_mov_b32_e32 v31, v40
	s_add_u32 s8, s36, 0x1000
	s_addc_u32 s9, s37, 0
	s_getpc_b64 s[16:17]
	s_add_u32 s16, s16, _Z46ncclDevFunc_Reduce_RING_SIMPLE_MinMax_u8_0_0_4v@rel32@lo+4
	s_addc_u32 s17, s17, _Z46ncclDevFunc_Reduce_RING_SIMPLE_MinMax_u8_0_0_4v@rel32@hi+12
	s_mov_b64 s[4:5], s[48:49]
	s_mov_b64 s[6:7], s[38:39]
	;; [unrolled: 1-line block ×3, first 2 shown]
	s_mov_b32 s12, s51
	s_mov_b32 s13, s50
	;; [unrolled: 1-line block ×3, first 2 shown]
	s_swappc_b64 s[30:31], s[16:17]
.LBB2_500:                              ;   in Loop: Header=BB2_90 Depth=1
	s_mov_b32 s4, 0
.LBB2_501:                              ;   in Loop: Header=BB2_90 Depth=1
	s_andn2_b32 vcc_lo, exec_lo, s4
	s_cbranch_vccnz .LBB2_576
; %bb.502:                              ;   in Loop: Header=BB2_90 Depth=1
	s_cmp_gt_u32 s65, 10
	s_mov_b32 s4, -1
	s_cbranch_scc0 .LBB2_541
; %bb.503:                              ;   in Loop: Header=BB2_90 Depth=1
	s_cmp_gt_u32 s65, 15
	s_cbranch_scc0 .LBB2_524
; %bb.504:                              ;   in Loop: Header=BB2_90 Depth=1
	s_cmp_gt_u32 s65, 18
	s_cbranch_scc0 .LBB2_514
; %bb.505:                              ;   in Loop: Header=BB2_90 Depth=1
	s_sext_i32_i16 s4, s64
	s_cmp_lt_i32 s4, 20
	s_mov_b32 s4, -1
	s_cbranch_scc1 .LBB2_511
; %bb.506:                              ;   in Loop: Header=BB2_90 Depth=1
	s_cmp_lg_u32 s65, 20
	s_cbranch_scc0 .LBB2_508
; %bb.507:                              ;   in Loop: Header=BB2_90 Depth=1
	v_mov_b32_e32 v31, v40
	s_add_u32 s8, s36, 0x1000
	s_addc_u32 s9, s37, 0
	s_getpc_b64 s[16:17]
	s_add_u32 s16, s16, _Z48ncclDevFunc_Reduce_RING_SIMPLE_Prod_f8e4m3_0_0_4v@rel32@lo+4
	s_addc_u32 s17, s17, _Z48ncclDevFunc_Reduce_RING_SIMPLE_Prod_f8e4m3_0_0_4v@rel32@hi+12
	s_mov_b64 s[4:5], s[48:49]
	s_mov_b64 s[6:7], s[38:39]
	s_mov_b64 s[10:11], s[34:35]
	s_mov_b32 s12, s51
	s_mov_b32 s13, s50
	s_mov_b32 s14, s33
	s_swappc_b64 s[30:31], s[16:17]
	s_mov_b32 s4, 0
.LBB2_508:                              ;   in Loop: Header=BB2_90 Depth=1
	s_andn2_b32 vcc_lo, exec_lo, s4
	s_cbranch_vccnz .LBB2_510
; %bb.509:                              ;   in Loop: Header=BB2_90 Depth=1
	v_mov_b32_e32 v31, v40
	s_add_u32 s8, s36, 0x1000
	s_addc_u32 s9, s37, 0
	s_getpc_b64 s[16:17]
	s_add_u32 s16, s16, _Z46ncclDevFunc_Reduce_RING_SIMPLE_Prod_bf16_0_1_4v@rel32@lo+4
	s_addc_u32 s17, s17, _Z46ncclDevFunc_Reduce_RING_SIMPLE_Prod_bf16_0_1_4v@rel32@hi+12
	s_mov_b64 s[4:5], s[48:49]
	s_mov_b64 s[6:7], s[38:39]
	;; [unrolled: 1-line block ×3, first 2 shown]
	s_mov_b32 s12, s51
	s_mov_b32 s13, s50
	;; [unrolled: 1-line block ×3, first 2 shown]
	s_swappc_b64 s[30:31], s[16:17]
.LBB2_510:                              ;   in Loop: Header=BB2_90 Depth=1
	s_mov_b32 s4, 0
.LBB2_511:                              ;   in Loop: Header=BB2_90 Depth=1
	s_andn2_b32 vcc_lo, exec_lo, s4
	s_cbranch_vccnz .LBB2_513
; %bb.512:                              ;   in Loop: Header=BB2_90 Depth=1
	v_mov_b32_e32 v31, v40
	s_add_u32 s8, s36, 0x1000
	s_addc_u32 s9, s37, 0
	s_getpc_b64 s[16:17]
	s_add_u32 s16, s16, _Z46ncclDevFunc_Reduce_RING_SIMPLE_Prod_bf16_0_0_4v@rel32@lo+4
	s_addc_u32 s17, s17, _Z46ncclDevFunc_Reduce_RING_SIMPLE_Prod_bf16_0_0_4v@rel32@hi+12
	s_mov_b64 s[4:5], s[48:49]
	s_mov_b64 s[6:7], s[38:39]
	;; [unrolled: 1-line block ×3, first 2 shown]
	s_mov_b32 s12, s51
	s_mov_b32 s13, s50
	s_mov_b32 s14, s33
	s_swappc_b64 s[30:31], s[16:17]
.LBB2_513:                              ;   in Loop: Header=BB2_90 Depth=1
	s_mov_b32 s4, 0
.LBB2_514:                              ;   in Loop: Header=BB2_90 Depth=1
	s_and_b32 vcc_lo, exec_lo, s4
	s_cbranch_vccz .LBB2_523
; %bb.515:                              ;   in Loop: Header=BB2_90 Depth=1
	s_sext_i32_i16 s4, s64
	s_cmp_lt_i32 s4, 17
	s_mov_b32 s4, -1
	s_cbranch_scc1 .LBB2_521
; %bb.516:                              ;   in Loop: Header=BB2_90 Depth=1
	s_cmp_lg_u32 s65, 17
	s_cbranch_scc0 .LBB2_518
; %bb.517:                              ;   in Loop: Header=BB2_90 Depth=1
	v_mov_b32_e32 v31, v40
	s_add_u32 s8, s36, 0x1000
	s_addc_u32 s9, s37, 0
	s_getpc_b64 s[16:17]
	s_add_u32 s16, s16, _Z45ncclDevFunc_Reduce_RING_SIMPLE_Prod_f64_0_0_4v@rel32@lo+4
	s_addc_u32 s17, s17, _Z45ncclDevFunc_Reduce_RING_SIMPLE_Prod_f64_0_0_4v@rel32@hi+12
	s_mov_b64 s[4:5], s[48:49]
	s_mov_b64 s[6:7], s[38:39]
	;; [unrolled: 1-line block ×3, first 2 shown]
	s_mov_b32 s12, s51
	s_mov_b32 s13, s50
	;; [unrolled: 1-line block ×3, first 2 shown]
	s_swappc_b64 s[30:31], s[16:17]
	s_mov_b32 s4, 0
.LBB2_518:                              ;   in Loop: Header=BB2_90 Depth=1
	s_andn2_b32 vcc_lo, exec_lo, s4
	s_cbranch_vccnz .LBB2_520
; %bb.519:                              ;   in Loop: Header=BB2_90 Depth=1
	v_mov_b32_e32 v31, v40
	s_add_u32 s8, s36, 0x1000
	s_addc_u32 s9, s37, 0
	s_getpc_b64 s[16:17]
	s_add_u32 s16, s16, _Z45ncclDevFunc_Reduce_RING_SIMPLE_Prod_f32_0_0_4v@rel32@lo+4
	s_addc_u32 s17, s17, _Z45ncclDevFunc_Reduce_RING_SIMPLE_Prod_f32_0_0_4v@rel32@hi+12
	s_mov_b64 s[4:5], s[48:49]
	s_mov_b64 s[6:7], s[38:39]
	;; [unrolled: 1-line block ×3, first 2 shown]
	s_mov_b32 s12, s51
	s_mov_b32 s13, s50
	;; [unrolled: 1-line block ×3, first 2 shown]
	s_swappc_b64 s[30:31], s[16:17]
.LBB2_520:                              ;   in Loop: Header=BB2_90 Depth=1
	s_mov_b32 s4, 0
.LBB2_521:                              ;   in Loop: Header=BB2_90 Depth=1
	s_andn2_b32 vcc_lo, exec_lo, s4
	s_cbranch_vccnz .LBB2_523
; %bb.522:                              ;   in Loop: Header=BB2_90 Depth=1
	v_mov_b32_e32 v31, v40
	s_add_u32 s8, s36, 0x1000
	s_addc_u32 s9, s37, 0
	s_getpc_b64 s[16:17]
	s_add_u32 s16, s16, _Z45ncclDevFunc_Reduce_RING_SIMPLE_Prod_f16_0_0_4v@rel32@lo+4
	s_addc_u32 s17, s17, _Z45ncclDevFunc_Reduce_RING_SIMPLE_Prod_f16_0_0_4v@rel32@hi+12
	s_mov_b64 s[4:5], s[48:49]
	s_mov_b64 s[6:7], s[38:39]
	;; [unrolled: 1-line block ×3, first 2 shown]
	s_mov_b32 s12, s51
	s_mov_b32 s13, s50
	;; [unrolled: 1-line block ×3, first 2 shown]
	s_swappc_b64 s[30:31], s[16:17]
.LBB2_523:                              ;   in Loop: Header=BB2_90 Depth=1
	s_mov_b32 s4, 0
.LBB2_524:                              ;   in Loop: Header=BB2_90 Depth=1
	s_andn2_b32 vcc_lo, exec_lo, s4
	s_cbranch_vccnz .LBB2_540
; %bb.525:                              ;   in Loop: Header=BB2_90 Depth=1
	s_cmp_gt_u32 s65, 12
	s_mov_b32 s4, -1
	s_cbranch_scc0 .LBB2_535
; %bb.526:                              ;   in Loop: Header=BB2_90 Depth=1
	s_sext_i32_i16 s4, s64
	s_cmp_lt_i32 s4, 14
	s_mov_b32 s4, -1
	s_cbranch_scc1 .LBB2_532
; %bb.527:                              ;   in Loop: Header=BB2_90 Depth=1
	s_cmp_lg_u32 s65, 14
	s_cbranch_scc0 .LBB2_529
; %bb.528:                              ;   in Loop: Header=BB2_90 Depth=1
	v_mov_b32_e32 v31, v40
	s_add_u32 s8, s36, 0x1000
	s_addc_u32 s9, s37, 0
	s_getpc_b64 s[16:17]
	s_add_u32 s16, s16, _Z45ncclDevFunc_Reduce_RING_SIMPLE_Prod_u64_0_0_4v@rel32@lo+4
	s_addc_u32 s17, s17, _Z45ncclDevFunc_Reduce_RING_SIMPLE_Prod_u64_0_0_4v@rel32@hi+12
	s_mov_b64 s[4:5], s[48:49]
	s_mov_b64 s[6:7], s[38:39]
	;; [unrolled: 1-line block ×3, first 2 shown]
	s_mov_b32 s12, s51
	s_mov_b32 s13, s50
	s_mov_b32 s14, s33
	s_swappc_b64 s[30:31], s[16:17]
	s_mov_b32 s4, 0
.LBB2_529:                              ;   in Loop: Header=BB2_90 Depth=1
	s_andn2_b32 vcc_lo, exec_lo, s4
	s_cbranch_vccnz .LBB2_531
; %bb.530:                              ;   in Loop: Header=BB2_90 Depth=1
	v_mov_b32_e32 v31, v40
	s_add_u32 s8, s36, 0x1000
	s_addc_u32 s9, s37, 0
	s_getpc_b64 s[16:17]
	s_add_u32 s16, s16, _Z45ncclDevFunc_Reduce_RING_SIMPLE_Prod_u32_0_0_4v@rel32@lo+4
	s_addc_u32 s17, s17, _Z45ncclDevFunc_Reduce_RING_SIMPLE_Prod_u32_0_0_4v@rel32@hi+12
	s_mov_b64 s[4:5], s[48:49]
	s_mov_b64 s[6:7], s[38:39]
	;; [unrolled: 1-line block ×3, first 2 shown]
	s_mov_b32 s12, s51
	s_mov_b32 s13, s50
	;; [unrolled: 1-line block ×3, first 2 shown]
	s_swappc_b64 s[30:31], s[16:17]
.LBB2_531:                              ;   in Loop: Header=BB2_90 Depth=1
	s_mov_b32 s4, 0
.LBB2_532:                              ;   in Loop: Header=BB2_90 Depth=1
	s_andn2_b32 vcc_lo, exec_lo, s4
	s_cbranch_vccnz .LBB2_534
; %bb.533:                              ;   in Loop: Header=BB2_90 Depth=1
	v_mov_b32_e32 v31, v40
	s_add_u32 s8, s36, 0x1000
	s_addc_u32 s9, s37, 0
	s_getpc_b64 s[16:17]
	s_add_u32 s16, s16, _Z44ncclDevFunc_Reduce_RING_SIMPLE_Prod_u8_0_0_4v@rel32@lo+4
	s_addc_u32 s17, s17, _Z44ncclDevFunc_Reduce_RING_SIMPLE_Prod_u8_0_0_4v@rel32@hi+12
	s_mov_b64 s[4:5], s[48:49]
	s_mov_b64 s[6:7], s[38:39]
	;; [unrolled: 1-line block ×3, first 2 shown]
	s_mov_b32 s12, s51
	s_mov_b32 s13, s50
	;; [unrolled: 1-line block ×3, first 2 shown]
	s_swappc_b64 s[30:31], s[16:17]
.LBB2_534:                              ;   in Loop: Header=BB2_90 Depth=1
	s_mov_b32 s4, 0
.LBB2_535:                              ;   in Loop: Header=BB2_90 Depth=1
	s_and_b32 vcc_lo, exec_lo, s4
	s_cbranch_vccz .LBB2_540
; %bb.536:                              ;   in Loop: Header=BB2_90 Depth=1
	s_cmp_eq_u32 s65, 12
	s_mov_b32 s4, -1
	s_cbranch_scc1 .LBB2_538
; %bb.537:                              ;   in Loop: Header=BB2_90 Depth=1
	v_mov_b32_e32 v31, v40
	s_add_u32 s8, s36, 0x1000
	s_addc_u32 s9, s37, 0
	s_getpc_b64 s[16:17]
	s_add_u32 s16, s16, _Z47ncclDevFunc_Reduce_RING_SIMPLE_Sum_f8e4m3_0_0_4v@rel32@lo+4
	s_addc_u32 s17, s17, _Z47ncclDevFunc_Reduce_RING_SIMPLE_Sum_f8e4m3_0_0_4v@rel32@hi+12
	s_mov_b64 s[4:5], s[48:49]
	s_mov_b64 s[6:7], s[38:39]
	;; [unrolled: 1-line block ×3, first 2 shown]
	s_mov_b32 s12, s51
	s_mov_b32 s13, s50
	;; [unrolled: 1-line block ×3, first 2 shown]
	s_swappc_b64 s[30:31], s[16:17]
	s_mov_b32 s4, 0
.LBB2_538:                              ;   in Loop: Header=BB2_90 Depth=1
	s_andn2_b32 vcc_lo, exec_lo, s4
	s_cbranch_vccnz .LBB2_540
; %bb.539:                              ;   in Loop: Header=BB2_90 Depth=1
	v_mov_b32_e32 v31, v40
	s_add_u32 s8, s36, 0x1000
	s_addc_u32 s9, s37, 0
	s_getpc_b64 s[16:17]
	s_add_u32 s16, s16, _Z47ncclDevFunc_Reduce_RING_SIMPLE_Sum_f8e5m2_0_0_4v@rel32@lo+4
	s_addc_u32 s17, s17, _Z47ncclDevFunc_Reduce_RING_SIMPLE_Sum_f8e5m2_0_0_4v@rel32@hi+12
	s_mov_b64 s[4:5], s[48:49]
	s_mov_b64 s[6:7], s[38:39]
	;; [unrolled: 1-line block ×3, first 2 shown]
	s_mov_b32 s12, s51
	s_mov_b32 s13, s50
	;; [unrolled: 1-line block ×3, first 2 shown]
	s_swappc_b64 s[30:31], s[16:17]
.LBB2_540:                              ;   in Loop: Header=BB2_90 Depth=1
	s_mov_b32 s4, 0
.LBB2_541:                              ;   in Loop: Header=BB2_90 Depth=1
	s_andn2_b32 vcc_lo, exec_lo, s4
	s_cbranch_vccnz .LBB2_576
; %bb.542:                              ;   in Loop: Header=BB2_90 Depth=1
	s_cmp_gt_u32 s65, 4
	s_mov_b32 s4, -1
	s_cbranch_scc0 .LBB2_563
; %bb.543:                              ;   in Loop: Header=BB2_90 Depth=1
	s_cmp_gt_u32 s65, 7
	s_cbranch_scc0 .LBB2_553
; %bb.544:                              ;   in Loop: Header=BB2_90 Depth=1
	s_sext_i32_i16 s4, s64
	s_cmp_lt_i32 s4, 9
	s_mov_b32 s4, -1
	s_cbranch_scc1 .LBB2_550
; %bb.545:                              ;   in Loop: Header=BB2_90 Depth=1
	s_cmp_lg_u32 s65, 9
	s_cbranch_scc0 .LBB2_547
; %bb.546:                              ;   in Loop: Header=BB2_90 Depth=1
	v_mov_b32_e32 v31, v40
	s_add_u32 s8, s36, 0x1000
	s_addc_u32 s9, s37, 0
	s_getpc_b64 s[16:17]
	s_add_u32 s16, s16, _Z45ncclDevFunc_Reduce_RING_SIMPLE_Sum_bf16_0_1_4v@rel32@lo+4
	s_addc_u32 s17, s17, _Z45ncclDevFunc_Reduce_RING_SIMPLE_Sum_bf16_0_1_4v@rel32@hi+12
	s_mov_b64 s[4:5], s[48:49]
	s_mov_b64 s[6:7], s[38:39]
	;; [unrolled: 1-line block ×3, first 2 shown]
	s_mov_b32 s12, s51
	s_mov_b32 s13, s50
	;; [unrolled: 1-line block ×3, first 2 shown]
	s_swappc_b64 s[30:31], s[16:17]
	s_mov_b32 s4, 0
.LBB2_547:                              ;   in Loop: Header=BB2_90 Depth=1
	s_andn2_b32 vcc_lo, exec_lo, s4
	s_cbranch_vccnz .LBB2_549
; %bb.548:                              ;   in Loop: Header=BB2_90 Depth=1
	v_mov_b32_e32 v31, v40
	s_add_u32 s8, s36, 0x1000
	s_addc_u32 s9, s37, 0
	s_getpc_b64 s[16:17]
	s_add_u32 s16, s16, _Z45ncclDevFunc_Reduce_RING_SIMPLE_Sum_bf16_0_0_4v@rel32@lo+4
	s_addc_u32 s17, s17, _Z45ncclDevFunc_Reduce_RING_SIMPLE_Sum_bf16_0_0_4v@rel32@hi+12
	s_mov_b64 s[4:5], s[48:49]
	s_mov_b64 s[6:7], s[38:39]
	;; [unrolled: 1-line block ×3, first 2 shown]
	s_mov_b32 s12, s51
	s_mov_b32 s13, s50
	;; [unrolled: 1-line block ×3, first 2 shown]
	s_swappc_b64 s[30:31], s[16:17]
.LBB2_549:                              ;   in Loop: Header=BB2_90 Depth=1
	s_mov_b32 s4, 0
.LBB2_550:                              ;   in Loop: Header=BB2_90 Depth=1
	s_andn2_b32 vcc_lo, exec_lo, s4
	s_cbranch_vccnz .LBB2_552
; %bb.551:                              ;   in Loop: Header=BB2_90 Depth=1
	v_mov_b32_e32 v31, v40
	s_add_u32 s8, s36, 0x1000
	s_addc_u32 s9, s37, 0
	s_getpc_b64 s[16:17]
	s_add_u32 s16, s16, _Z44ncclDevFunc_Reduce_RING_SIMPLE_Sum_f64_0_0_4v@rel32@lo+4
	s_addc_u32 s17, s17, _Z44ncclDevFunc_Reduce_RING_SIMPLE_Sum_f64_0_0_4v@rel32@hi+12
	s_mov_b64 s[4:5], s[48:49]
	s_mov_b64 s[6:7], s[38:39]
	;; [unrolled: 1-line block ×3, first 2 shown]
	s_mov_b32 s12, s51
	s_mov_b32 s13, s50
	;; [unrolled: 1-line block ×3, first 2 shown]
	s_swappc_b64 s[30:31], s[16:17]
.LBB2_552:                              ;   in Loop: Header=BB2_90 Depth=1
	s_mov_b32 s4, 0
.LBB2_553:                              ;   in Loop: Header=BB2_90 Depth=1
	s_and_b32 vcc_lo, exec_lo, s4
	s_cbranch_vccz .LBB2_562
; %bb.554:                              ;   in Loop: Header=BB2_90 Depth=1
	s_sext_i32_i16 s4, s64
	s_cmp_lt_i32 s4, 6
	s_mov_b32 s4, -1
	s_cbranch_scc1 .LBB2_560
; %bb.555:                              ;   in Loop: Header=BB2_90 Depth=1
	s_cmp_lg_u32 s65, 6
	s_cbranch_scc0 .LBB2_557
; %bb.556:                              ;   in Loop: Header=BB2_90 Depth=1
	v_mov_b32_e32 v31, v40
	s_add_u32 s8, s36, 0x1000
	s_addc_u32 s9, s37, 0
	s_getpc_b64 s[16:17]
	s_add_u32 s16, s16, _Z44ncclDevFunc_Reduce_RING_SIMPLE_Sum_f32_0_0_4v@rel32@lo+4
	s_addc_u32 s17, s17, _Z44ncclDevFunc_Reduce_RING_SIMPLE_Sum_f32_0_0_4v@rel32@hi+12
	s_mov_b64 s[4:5], s[48:49]
	s_mov_b64 s[6:7], s[38:39]
	;; [unrolled: 1-line block ×3, first 2 shown]
	s_mov_b32 s12, s51
	s_mov_b32 s13, s50
	;; [unrolled: 1-line block ×3, first 2 shown]
	s_swappc_b64 s[30:31], s[16:17]
	s_mov_b32 s4, 0
.LBB2_557:                              ;   in Loop: Header=BB2_90 Depth=1
	s_andn2_b32 vcc_lo, exec_lo, s4
	s_cbranch_vccnz .LBB2_559
; %bb.558:                              ;   in Loop: Header=BB2_90 Depth=1
	v_mov_b32_e32 v31, v40
	s_add_u32 s8, s36, 0x1000
	s_addc_u32 s9, s37, 0
	s_getpc_b64 s[16:17]
	s_add_u32 s16, s16, _Z44ncclDevFunc_Reduce_RING_SIMPLE_Sum_f16_0_0_4v@rel32@lo+4
	s_addc_u32 s17, s17, _Z44ncclDevFunc_Reduce_RING_SIMPLE_Sum_f16_0_0_4v@rel32@hi+12
	s_mov_b64 s[4:5], s[48:49]
	s_mov_b64 s[6:7], s[38:39]
	;; [unrolled: 1-line block ×3, first 2 shown]
	s_mov_b32 s12, s51
	s_mov_b32 s13, s50
	;; [unrolled: 1-line block ×3, first 2 shown]
	s_swappc_b64 s[30:31], s[16:17]
.LBB2_559:                              ;   in Loop: Header=BB2_90 Depth=1
	s_mov_b32 s4, 0
.LBB2_560:                              ;   in Loop: Header=BB2_90 Depth=1
	s_andn2_b32 vcc_lo, exec_lo, s4
	s_cbranch_vccnz .LBB2_562
; %bb.561:                              ;   in Loop: Header=BB2_90 Depth=1
	v_mov_b32_e32 v31, v40
	s_add_u32 s8, s36, 0x1000
	s_addc_u32 s9, s37, 0
	s_getpc_b64 s[16:17]
	s_add_u32 s16, s16, _Z44ncclDevFunc_Reduce_RING_SIMPLE_Sum_u64_0_0_4v@rel32@lo+4
	s_addc_u32 s17, s17, _Z44ncclDevFunc_Reduce_RING_SIMPLE_Sum_u64_0_0_4v@rel32@hi+12
	s_mov_b64 s[4:5], s[48:49]
	s_mov_b64 s[6:7], s[38:39]
	;; [unrolled: 1-line block ×3, first 2 shown]
	s_mov_b32 s12, s51
	s_mov_b32 s13, s50
	;; [unrolled: 1-line block ×3, first 2 shown]
	s_swappc_b64 s[30:31], s[16:17]
.LBB2_562:                              ;   in Loop: Header=BB2_90 Depth=1
	s_mov_b32 s4, 0
.LBB2_563:                              ;   in Loop: Header=BB2_90 Depth=1
	s_andn2_b32 vcc_lo, exec_lo, s4
	s_cbranch_vccnz .LBB2_576
; %bb.564:                              ;   in Loop: Header=BB2_90 Depth=1
	s_cmp_gt_u32 s65, 1
	s_mov_b32 s4, -1
	s_cbranch_scc0 .LBB2_574
; %bb.565:                              ;   in Loop: Header=BB2_90 Depth=1
	s_sext_i32_i16 s4, s64
	s_cmp_lt_i32 s4, 3
	s_mov_b32 s4, -1
	s_cbranch_scc1 .LBB2_571
; %bb.566:                              ;   in Loop: Header=BB2_90 Depth=1
	s_cmp_lg_u32 s65, 3
	s_cbranch_scc0 .LBB2_568
; %bb.567:                              ;   in Loop: Header=BB2_90 Depth=1
	v_mov_b32_e32 v31, v40
	s_add_u32 s8, s36, 0x1000
	s_addc_u32 s9, s37, 0
	s_getpc_b64 s[16:17]
	s_add_u32 s16, s16, _Z44ncclDevFunc_Reduce_RING_SIMPLE_Sum_u32_0_0_4v@rel32@lo+4
	s_addc_u32 s17, s17, _Z44ncclDevFunc_Reduce_RING_SIMPLE_Sum_u32_0_0_4v@rel32@hi+12
	s_mov_b64 s[4:5], s[48:49]
	s_mov_b64 s[6:7], s[38:39]
	;; [unrolled: 1-line block ×3, first 2 shown]
	s_mov_b32 s12, s51
	s_mov_b32 s13, s50
	;; [unrolled: 1-line block ×3, first 2 shown]
	s_swappc_b64 s[30:31], s[16:17]
	s_mov_b32 s4, 0
.LBB2_568:                              ;   in Loop: Header=BB2_90 Depth=1
	s_andn2_b32 vcc_lo, exec_lo, s4
	s_cbranch_vccnz .LBB2_570
; %bb.569:                              ;   in Loop: Header=BB2_90 Depth=1
	v_mov_b32_e32 v31, v40
	s_add_u32 s8, s36, 0x1000
	s_addc_u32 s9, s37, 0
	s_getpc_b64 s[16:17]
	s_add_u32 s16, s16, _Z43ncclDevFunc_Reduce_RING_SIMPLE_Sum_u8_0_0_4v@rel32@lo+4
	s_addc_u32 s17, s17, _Z43ncclDevFunc_Reduce_RING_SIMPLE_Sum_u8_0_0_4v@rel32@hi+12
	s_mov_b64 s[4:5], s[48:49]
	s_mov_b64 s[6:7], s[38:39]
	;; [unrolled: 1-line block ×3, first 2 shown]
	s_mov_b32 s12, s51
	s_mov_b32 s13, s50
	s_mov_b32 s14, s33
	s_swappc_b64 s[30:31], s[16:17]
.LBB2_570:                              ;   in Loop: Header=BB2_90 Depth=1
	s_mov_b32 s4, 0
.LBB2_571:                              ;   in Loop: Header=BB2_90 Depth=1
	s_andn2_b32 vcc_lo, exec_lo, s4
	s_cbranch_vccnz .LBB2_573
; %bb.572:                              ;   in Loop: Header=BB2_90 Depth=1
	v_mov_b32_e32 v31, v40
	s_add_u32 s8, s36, 0x1000
	s_addc_u32 s9, s37, 0
	s_getpc_b64 s[16:17]
	s_add_u32 s16, s16, _Z46ncclDevFunc_Broadcast_RING_SIMPLE_Sum_i8_0_0_4v@rel32@lo+4
	s_addc_u32 s17, s17, _Z46ncclDevFunc_Broadcast_RING_SIMPLE_Sum_i8_0_0_4v@rel32@hi+12
	s_mov_b64 s[4:5], s[48:49]
	s_mov_b64 s[6:7], s[38:39]
	;; [unrolled: 1-line block ×3, first 2 shown]
	s_mov_b32 s12, s51
	s_mov_b32 s13, s50
	;; [unrolled: 1-line block ×3, first 2 shown]
	s_swappc_b64 s[30:31], s[16:17]
.LBB2_573:                              ;   in Loop: Header=BB2_90 Depth=1
	s_mov_b32 s4, 0
.LBB2_574:                              ;   in Loop: Header=BB2_90 Depth=1
	s_and_b32 vcc_lo, exec_lo, s4
	s_cbranch_vccz .LBB2_576
; %bb.575:                              ;   in Loop: Header=BB2_90 Depth=1
	v_mov_b32_e32 v31, v40
	s_add_u32 s8, s36, 0x1000
	s_addc_u32 s9, s37, 0
	s_getpc_b64 s[16:17]
	s_add_u32 s16, s16, _Z42ncclDevFunc_Broadcast_RING_LL_Sum_i8_0_0_4v@rel32@lo+4
	s_addc_u32 s17, s17, _Z42ncclDevFunc_Broadcast_RING_LL_Sum_i8_0_0_4v@rel32@hi+12
	s_mov_b64 s[4:5], s[48:49]
	s_mov_b64 s[6:7], s[38:39]
	;; [unrolled: 1-line block ×3, first 2 shown]
	s_mov_b32 s12, s51
	s_mov_b32 s13, s50
	;; [unrolled: 1-line block ×3, first 2 shown]
	s_swappc_b64 s[30:31], s[16:17]
.LBB2_576:                              ;   in Loop: Header=BB2_90 Depth=1
	ds_read_b32 v0, v41 offset:17060
	s_waitcnt lgkmcnt(0)
	v_cmp_eq_u32_e32 vcc_lo, -1, v0
	v_readfirstlane_b32 s6, v0
	s_cbranch_vccnz .LBB2_591
; %bb.577:                              ;   in Loop: Header=BB2_90 Depth=1
	s_waitcnt_vscnt null, 0x0
	s_barrier
	buffer_gl0_inv
	s_and_saveexec_b32 s4, s55
	s_cbranch_execz .LBB2_581
; %bb.578:                              ;   in Loop: Header=BB2_90 Depth=1
	s_and_saveexec_b32 s5, s53
; %bb.579:                              ;   in Loop: Header=BB2_90 Depth=1
	v_mov_b32_e32 v42, v41
	ds_write_b64 v41, v[41:42] offset:21208
; %bb.580:                              ;   in Loop: Header=BB2_90 Depth=1
	s_or_b32 exec_lo, exec_lo, s5
	v_mov_b32_e32 v42, v41
	ds_write_b64 v43, v[41:42]
.LBB2_581:                              ;   in Loop: Header=BB2_90 Depth=1
	s_or_b32 exec_lo, exec_lo, s4
	s_and_saveexec_b32 s4, s52
	s_cbranch_execz .LBB2_593
; %bb.582:                              ;   in Loop: Header=BB2_90 Depth=1
	ds_read_b32 v6, v41 offset:17068
	ds_read_b64 v[2:3], v41 offset:17040
	s_waitcnt lgkmcnt(1)
	v_ashrrev_i32_e32 v5, 31, v6
	s_waitcnt lgkmcnt(0)
	v_add_co_u32 v0, vcc_lo, v2, 1
	v_add_co_ci_u32_e64 v1, null, 0, v3, vcc_lo
	v_add_co_u32 v4, vcc_lo, v2, v6
	v_add_co_ci_u32_e64 v5, null, v3, v5, vcc_lo
	v_cmp_gt_u64_e32 vcc_lo, v[0:1], v[4:5]
	s_cbranch_vccnz .LBB2_592
; %bb.583:                              ;   in Loop: Header=BB2_90 Depth=1
	ds_read_u8 v7, v41 offset:17064
	s_movk_i32 s5, 0x4f0e
	s_movk_i32 s7, 0x4eda
	s_branch .LBB2_585
.LBB2_584:                              ;   in Loop: Header=BB2_585 Depth=2
	s_waitcnt lgkmcnt(0)
	v_ashrrev_i32_e32 v5, 31, v6
	v_add_co_u32 v0, vcc_lo, v0, 1
	v_add_co_ci_u32_e64 v1, null, 0, v1, vcc_lo
	v_add_co_u32 v4, vcc_lo, v2, v6
	v_add_co_ci_u32_e64 v5, null, v3, v5, vcc_lo
	s_add_i32 s5, s5, 64
	s_addk_i32 s7, 0x80
	v_cmp_le_u64_e32 vcc_lo, v[0:1], v[4:5]
	s_cbranch_vccz .LBB2_592
.LBB2_585:                              ;   Parent Loop BB2_90 Depth=1
                                        ; =>  This Inner Loop Header: Depth=2
	s_waitcnt lgkmcnt(0)
	v_cmp_ne_u32_sdwa s8, v7, v41 src0_sel:BYTE_0 src1_sel:DWORD
	s_and_b32 vcc_lo, exec_lo, s8
	s_cbranch_vccz .LBB2_590
; %bb.586:                              ;   in Loop: Header=BB2_585 Depth=2
	v_mov_b32_e32 v4, s7
	ds_read_u8 v4, v4
	s_waitcnt lgkmcnt(0)
	v_and_b32_e32 v4, 1, v4
	s_cbranch_execnz .LBB2_588
.LBB2_587:                              ;   in Loop: Header=BB2_585 Depth=2
	v_mov_b32_e32 v4, s5
	ds_read_u16 v4, v4
	s_waitcnt lgkmcnt(0)
	v_bfe_u32 v4, v4, 6, 1
.LBB2_588:                              ;   in Loop: Header=BB2_585 Depth=2
	v_cmp_eq_u32_e32 vcc_lo, 0, v4
	s_cbranch_vccnz .LBB2_584
; %bb.589:                              ;   in Loop: Header=BB2_585 Depth=2
	s_memrealtime s[8:9]
	ds_read_u8 v7, v41 offset:17064
	ds_read_b32 v2, v41 offset:16560
	ds_read_b64 v[4:5], v41 offset:16664
	v_and_b32_e32 v6, 63, v0
	v_lshlrev_b32_e32 v6, 4, v6
	s_waitcnt lgkmcnt(0)
	v_ashrrev_i32_e32 v3, 31, v2
	v_lshlrev_b64 v[8:9], 10, v[2:3]
	v_mov_b32_e32 v2, s8
	v_mov_b32_e32 v3, s9
	v_add_co_u32 v4, vcc_lo, v4, v8
	v_add_co_ci_u32_e64 v5, null, v5, v9, vcc_lo
	v_add_co_u32 v4, vcc_lo, v4, v6
	v_add_co_ci_u32_e64 v5, null, 0, v5, vcc_lo
	flat_store_dwordx4 v[4:5], v[0:3]
	ds_read_b64 v[2:3], v41 offset:17040
	ds_read_b32 v6, v41 offset:17068
	s_branch .LBB2_584
.LBB2_590:                              ;   in Loop: Header=BB2_585 Depth=2
                                        ; implicit-def: $vgpr4
	s_branch .LBB2_587
.LBB2_591:                              ;   in Loop: Header=BB2_90 Depth=1
	s_cbranch_execz .LBB2_90
	s_branch .LBB2_76
.LBB2_592:                              ;   in Loop: Header=BB2_90 Depth=1
	ds_write_b64 v41, v[4:5] offset:17040
.LBB2_593:                              ;   in Loop: Header=BB2_90 Depth=1
	s_or_b32 exec_lo, exec_lo, s4
	v_mov_b32_e32 v9, v44
	s_mov_b32 s12, 0
                                        ; implicit-def: $vgpr0_vgpr1_vgpr2_vgpr3
	s_branch .LBB2_596
.LBB2_594:                              ;   in Loop: Header=BB2_596 Depth=2
	s_or_b32 exec_lo, exec_lo, s9
	v_mov_b32_e32 v4, v9
	s_mov_b32 s9, s6
.LBB2_595:                              ;   in Loop: Header=BB2_596 Depth=2
	v_mov_b32_e32 v9, v4
	s_andn2_b32 vcc_lo, exec_lo, s5
	s_mov_b32 s6, s9
	s_cbranch_vccz .LBB2_89
.LBB2_596:                              ;   Parent Loop BB2_90 Depth=1
                                        ; =>  This Inner Loop Header: Depth=2
	s_ashr_i32 s7, s6, 31
	s_lshl_b64 s[4:5], s[6:7], 4
	s_add_u32 s4, s36, s4
	s_addc_u32 s5, s37, s5
	s_load_dwordx4 s[8:11], s[4:5], 0x30
	s_mov_b32 s4, exec_lo
	s_waitcnt lgkmcnt(0)
	v_and_b32_e32 v4, s10, v46
	v_cmpx_ne_u32_e32 0, v4
; %bb.597:                              ;   in Loop: Header=BB2_596 Depth=2
	v_and_b32_e32 v4, s10, v47
	v_bcnt_u32_b32 v4, v4, v45
	ds_write_b8 v4, v44
; %bb.598:                              ;   in Loop: Header=BB2_596 Depth=2
	s_or_b32 exec_lo, exec_lo, s4
	v_and_b32_e32 v4, s11, v46
	s_bcnt1_i32_b32 s4, s10
	s_mov_b32 s5, exec_lo
	v_cmpx_ne_u32_e32 0, v4
	s_cbranch_execz .LBB2_600
; %bb.599:                              ;   in Loop: Header=BB2_596 Depth=2
	v_and_b32_e32 v4, s11, v47
	v_bcnt_u32_b32 v4, v4, 0
	v_add3_u32 v4, v45, s4, v4
	ds_write_b8 v4, v56
.LBB2_600:                              ;   in Loop: Header=BB2_596 Depth=2
	s_or_b32 exec_lo, exec_lo, s5
	s_bcnt1_i32_b32 s10, s11
	s_bfe_u32 s7, s8, 0x2000f
	s_add_i32 s10, s10, s4
	s_cmp_lt_i32 s7, 1
	s_mov_b32 s4, -1
                                        ; implicit-def: $vgpr10
                                        ; implicit-def: $vgpr11
                                        ; implicit-def: $vgpr4
                                        ; implicit-def: $vgpr12
	s_cbranch_scc1 .LBB2_608
; %bb.601:                              ;   in Loop: Header=BB2_596 Depth=2
	s_cmp_lg_u32 s7, 1
                                        ; implicit-def: $vgpr10
                                        ; implicit-def: $vgpr11
                                        ; implicit-def: $vgpr4
	s_cbranch_scc0 .LBB2_603
; %bb.602:                              ;   in Loop: Header=BB2_596 Depth=2
	v_mul_hi_i32 v4, 0x66666667, v9
	s_mov_b32 s4, 0
	v_lshrrev_b32_e32 v5, 31, v4
	v_ashrrev_i32_e32 v4, 3, v4
	v_add_nc_u32_e32 v10, v4, v5
	v_mul_u32_u24_e64 v4, s10, 20
	v_mul_lo_u32 v5, v10, 20
	v_sub_nc_u32_e32 v11, v9, v5
.LBB2_603:                              ;   in Loop: Header=BB2_596 Depth=2
	s_andn2_b32 vcc_lo, exec_lo, s4
	s_movk_i32 s4, 0x140
	s_cbranch_vccnz .LBB2_605
; %bb.604:                              ;   in Loop: Header=BB2_596 Depth=2
	v_ashrrev_i32_e32 v4, 31, v9
	s_lshl_b32 s4, s10, 3
	v_lshrrev_b32_e32 v4, 29, v4
	v_add_nc_u32_e32 v4, v9, v4
	v_and_b32_e32 v5, -8, v4
	v_ashrrev_i32_e32 v10, 3, v4
	v_mov_b32_e32 v4, s4
	s_movk_i32 s4, 0x80
	v_sub_nc_u32_e32 v11, v9, v5
.LBB2_605:                              ;   in Loop: Header=BB2_596 Depth=2
	v_mov_b32_e32 v12, s4
	s_cbranch_execz .LBB2_609
.LBB2_606:                              ;   in Loop: Header=BB2_596 Depth=2
	v_cmp_eq_u32_e64 s4, 0, v9
	s_and_saveexec_b32 s5, s4
	s_cbranch_execz .LBB2_610
.LBB2_607:                              ;   in Loop: Header=BB2_596 Depth=2
	ds_write_b32 v41, v12 offset:17072
	s_or_b32 exec_lo, exec_lo, s5
	s_mov_b32 s11, exec_lo
	v_cmpx_lt_i32_e64 v9, v4
	s_cbranch_execz .LBB2_618
	s_branch .LBB2_611
.LBB2_608:                              ;   in Loop: Header=BB2_596 Depth=2
	s_andn2_b32 vcc_lo, exec_lo, s4
	s_cbranch_vccnz .LBB2_606
.LBB2_609:                              ;   in Loop: Header=BB2_596 Depth=2
	v_ashrrev_i32_e32 v4, 31, v9
	s_lshl_b32 s4, s10, 2
	v_mov_b32_e32 v12, 64
	v_lshrrev_b32_e32 v4, 30, v4
	v_add_nc_u32_e32 v4, v9, v4
	v_and_b32_e32 v5, -4, v4
	v_ashrrev_i32_e32 v10, 2, v4
	v_mov_b32_e32 v4, s4
	v_sub_nc_u32_e32 v11, v9, v5
	v_cmp_eq_u32_e64 s4, 0, v9
	s_and_saveexec_b32 s5, s4
	s_cbranch_execnz .LBB2_607
.LBB2_610:                              ;   in Loop: Header=BB2_596 Depth=2
	s_or_b32 exec_lo, exec_lo, s5
	s_mov_b32 s11, exec_lo
	v_cmpx_lt_i32_e64 v9, v4
	s_cbranch_execz .LBB2_618
.LBB2_611:                              ;   in Loop: Header=BB2_596 Depth=2
	ds_read_u8 v4, v41 offset:16536
	v_add_nc_u32_e32 v5, v45, v10
	v_lshlrev_b32_e32 v13, 4, v11
	ds_read_u8 v14, v5
	s_waitcnt lgkmcnt(1)
	v_cmp_ne_u32_e64 s5, 0, v4
	s_and_b32 vcc_lo, exec_lo, s5
	s_cbranch_vccz .LBB2_614
; %bb.612:                              ;   in Loop: Header=BB2_596 Depth=2
	s_and_b32 vcc_lo, exec_lo, s5
	s_mov_b32 s5, -1
                                        ; implicit-def: $vgpr4_vgpr5_vgpr6_vgpr7
                                        ; implicit-def: $vgpr8
	s_cbranch_vccz .LBB2_615
.LBB2_613:                              ;   in Loop: Header=BB2_596 Depth=2
	ds_read_b32 v6, v41 offset:16540
	ds_read_b64 v[4:5], v41 offset:16544
	s_waitcnt lgkmcnt(2)
	v_mul_u32_u24_e32 v7, v12, v14
	v_lshlrev_b32_e32 v8, 4, v11
	v_add3_u32 v7, v8, s9, v7
	s_waitcnt lgkmcnt(1)
	v_and_b32_e32 v6, v6, v7
	s_waitcnt lgkmcnt(0)
	v_add_co_u32 v4, vcc_lo, v4, v6
	v_add_co_ci_u32_e64 v5, null, 0, v5, vcc_lo
	flat_load_dwordx4 v[4:7], v[4:5]
	s_cbranch_execz .LBB2_616
	s_branch .LBB2_617
.LBB2_614:                              ;   in Loop: Header=BB2_596 Depth=2
	v_lshlrev_b32_e32 v0, 4, v11
	s_waitcnt lgkmcnt(0)
	v_mul_u32_u24_e32 v1, v12, v14
	v_add3_u32 v0, v0, s9, v1
	global_load_dwordx4 v[0:3], v0, s[36:37]
	s_and_b32 vcc_lo, exec_lo, s5
	s_mov_b32 s5, -1
                                        ; implicit-def: $vgpr4_vgpr5_vgpr6_vgpr7
                                        ; implicit-def: $vgpr8
	s_cbranch_vccnz .LBB2_613
.LBB2_615:                              ;   in Loop: Header=BB2_596 Depth=2
	s_andn2_b32 vcc_lo, exec_lo, s5
	s_cbranch_vccnz .LBB2_617
.LBB2_616:                              ;   in Loop: Header=BB2_596 Depth=2
	s_waitcnt vmcnt(0) lgkmcnt(0)
	v_mov_b32_e32 v7, v3
	v_mov_b32_e32 v8, v13
	;; [unrolled: 1-line block ×5, first 2 shown]
.LBB2_617:                              ;   in Loop: Header=BB2_596 Depth=2
	s_waitcnt vmcnt(0)
	v_add_nc_u32_e32 v0, s12, v10
	v_mad_u64_u32 v[10:11], null, v0, v12, v[8:9]
	s_waitcnt lgkmcnt(0)
	v_mov_b32_e32 v0, v4
	v_mov_b32_e32 v1, v5
	;; [unrolled: 1-line block ×4, first 2 shown]
	ds_write_b128 v10, v[4:7] offset:20176
.LBB2_618:                              ;   in Loop: Header=BB2_596 Depth=2
	s_or_b32 exec_lo, exec_lo, s11
	s_bitcmp0_b32 s8, 14
	v_readfirstlane_b32 s9, v0
	s_cselect_b32 s5, -1, 0
	s_mov_b32 s11, -1
	s_and_b32 vcc_lo, exec_lo, s5
                                        ; implicit-def: $vgpr4
	s_cbranch_vccnz .LBB2_620
; %bb.619:                              ;   in Loop: Header=BB2_596 Depth=2
	v_cmp_gt_i32_e32 vcc_lo, 64, v9
	s_and_b32 s9, s8, 0x3fff
	s_add_i32 s9, s9, s6
	v_cndmask_b32_e64 v4, 0, s54, vcc_lo
	v_add3_u32 v4, v9, v4, 0xffffffc0
	s_add_i32 s12, s10, s12
	s_cbranch_execnz .LBB2_595
	s_branch .LBB2_621
.LBB2_620:                              ;   in Loop: Header=BB2_596 Depth=2
	s_andn2_b32 vcc_lo, exec_lo, s11
	s_add_i32 s12, s10, s12
	s_cbranch_vccnz .LBB2_595
.LBB2_621:                              ;   in Loop: Header=BB2_596 Depth=2
	s_and_saveexec_b32 s9, s4
	s_cbranch_execz .LBB2_594
; %bb.622:                              ;   in Loop: Header=BB2_596 Depth=2
	s_and_b32 s4, s8, 0x3fff
	v_mov_b32_e32 v6, s7
	s_add_i32 s10, s4, s6
	s_cmp_lg_u32 s4, 0
	v_mov_b32_e32 v9, 0
	s_cselect_b32 s4, s10, -1
	v_mov_b32_e32 v4, s6
	s_lshr_b32 s7, s8, 17
	v_mov_b32_e32 v5, s4
	v_mov_b32_e32 v7, s12
	;; [unrolled: 1-line block ×3, first 2 shown]
	ds_write_b8 v41, v6 offset:17064
	ds_write_b64 v41, v[4:5] offset:17056
	ds_write_b32 v41, v7 offset:17068
	ds_write_b16 v41, v8 offset:17066
	s_branch .LBB2_594
	.section	.rodata,"a",@progbits
	.p2align	6, 0x0
	.amdhsa_kernel _Z23ncclDevKernel_Generic_424ncclDevKernelArgsStorageILm4096EE
		.amdhsa_group_segment_fixed_size 21216
		.amdhsa_private_segment_fixed_size 0
		.amdhsa_kernarg_size 4352
		.amdhsa_user_sgpr_count 14
		.amdhsa_user_sgpr_private_segment_buffer 1
		.amdhsa_user_sgpr_dispatch_ptr 1
		.amdhsa_user_sgpr_queue_ptr 1
		.amdhsa_user_sgpr_kernarg_segment_ptr 1
		.amdhsa_user_sgpr_dispatch_id 1
		.amdhsa_user_sgpr_flat_scratch_init 1
		.amdhsa_user_sgpr_private_segment_size 0
		.amdhsa_wavefront_size32 1
		.amdhsa_uses_dynamic_stack 1
		.amdhsa_system_sgpr_private_segment_wavefront_offset 1
		.amdhsa_system_sgpr_workgroup_id_x 1
		.amdhsa_system_sgpr_workgroup_id_y 1
		.amdhsa_system_sgpr_workgroup_id_z 1
		.amdhsa_system_sgpr_workgroup_info 0
		.amdhsa_system_vgpr_workitem_id 2
		.amdhsa_next_free_vgpr max(totalnumvgprs(_Z23ncclDevKernel_Generic_424ncclDevKernelArgsStorageILm4096EE.num_agpr, _Z23ncclDevKernel_Generic_424ncclDevKernelArgsStorageILm4096EE.num_vgpr), 1, 65)
		.amdhsa_next_free_sgpr max(_Z23ncclDevKernel_Generic_424ncclDevKernelArgsStorageILm4096EE.numbered_sgpr+2, 1, 0)-2
		.amdhsa_reserve_vcc 1
		.amdhsa_reserve_flat_scratch 1
		.amdhsa_float_round_mode_32 0
		.amdhsa_float_round_mode_16_64 0
		.amdhsa_float_denorm_mode_32 3
		.amdhsa_float_denorm_mode_16_64 3
		.amdhsa_dx10_clamp 1
		.amdhsa_ieee_mode 1
		.amdhsa_fp16_overflow 0
		.amdhsa_workgroup_processor_mode 1
		.amdhsa_memory_ordered 1
		.amdhsa_forward_progress 1
		.amdhsa_shared_vgpr_count 0
		.amdhsa_exception_fp_ieee_invalid_op 0
		.amdhsa_exception_fp_denorm_src 0
		.amdhsa_exception_fp_ieee_div_zero 0
		.amdhsa_exception_fp_ieee_overflow 0
		.amdhsa_exception_fp_ieee_underflow 0
		.amdhsa_exception_fp_ieee_inexact 0
		.amdhsa_exception_int_div_zero 0
	.end_amdhsa_kernel
	.text
.Lfunc_end2:
	.size	_Z23ncclDevKernel_Generic_424ncclDevKernelArgsStorageILm4096EE, .Lfunc_end2-_Z23ncclDevKernel_Generic_424ncclDevKernelArgsStorageILm4096EE
                                        ; -- End function
	.set _Z23ncclDevKernel_Generic_424ncclDevKernelArgsStorageILm4096EE.num_vgpr, max(58, amdgpu.max_num_vgpr)
	.set _Z23ncclDevKernel_Generic_424ncclDevKernelArgsStorageILm4096EE.num_agpr, max(0, amdgpu.max_num_agpr)
	.set _Z23ncclDevKernel_Generic_424ncclDevKernelArgsStorageILm4096EE.numbered_sgpr, max(66, amdgpu.max_num_sgpr)
	.set _Z23ncclDevKernel_Generic_424ncclDevKernelArgsStorageILm4096EE.num_named_barrier, max(0, amdgpu.max_num_named_barrier)
	.set _Z23ncclDevKernel_Generic_424ncclDevKernelArgsStorageILm4096EE.private_seg_size, 0
	.set _Z23ncclDevKernel_Generic_424ncclDevKernelArgsStorageILm4096EE.uses_vcc, 1
	.set _Z23ncclDevKernel_Generic_424ncclDevKernelArgsStorageILm4096EE.uses_flat_scratch, 1
	.set _Z23ncclDevKernel_Generic_424ncclDevKernelArgsStorageILm4096EE.has_dyn_sized_stack, 1
	.set _Z23ncclDevKernel_Generic_424ncclDevKernelArgsStorageILm4096EE.has_recursion, 1
	.set _Z23ncclDevKernel_Generic_424ncclDevKernelArgsStorageILm4096EE.has_indirect_call, 1
	.section	.AMDGPU.csdata,"",@progbits
; Kernel info:
; codeLenInByte = 15948
; TotalNumSgprs: _Z23ncclDevKernel_Generic_424ncclDevKernelArgsStorageILm4096EE.numbered_sgpr+2
; NumVgprs: _Z23ncclDevKernel_Generic_424ncclDevKernelArgsStorageILm4096EE.num_vgpr
; ScratchSize: 0
; MemoryBound: 0
; FloatMode: 240
; IeeeMode: 1
; LDSByteSize: 21216 bytes/workgroup (compile time only)
; SGPRBlocks: 0
; VGPRBlocks: (alignto(max(max(totalnumvgprs(_Z23ncclDevKernel_Generic_424ncclDevKernelArgsStorageILm4096EE.num_agpr, _Z23ncclDevKernel_Generic_424ncclDevKernelArgsStorageILm4096EE.num_vgpr), 1, 65), 1), 8)/8)-1
; NumSGPRsForWavesPerEU: max(_Z23ncclDevKernel_Generic_424ncclDevKernelArgsStorageILm4096EE.numbered_sgpr+2, 1, 0)
; NumVGPRsForWavesPerEU: max(totalnumvgprs(_Z23ncclDevKernel_Generic_424ncclDevKernelArgsStorageILm4096EE.num_agpr, _Z23ncclDevKernel_Generic_424ncclDevKernelArgsStorageILm4096EE.num_vgpr), 1, 65)
; Occupancy: occupancy(16, 16, 1024, 9, 12, max(_Z23ncclDevKernel_Generic_424ncclDevKernelArgsStorageILm4096EE.numbered_sgpr+extrasgprs(_Z23ncclDevKernel_Generic_424ncclDevKernelArgsStorageILm4096EE.uses_vcc, _Z23ncclDevKernel_Generic_424ncclDevKernelArgsStorageILm4096EE.uses_flat_scratch, 0), 1, 0), max(totalnumvgprs(_Z23ncclDevKernel_Generic_424ncclDevKernelArgsStorageILm4096EE.num_agpr, _Z23ncclDevKernel_Generic_424ncclDevKernelArgsStorageILm4096EE.num_vgpr), 1, 65))
; WaveLimiterHint : 0
; COMPUTE_PGM_RSRC2:SCRATCH_EN: 1
; COMPUTE_PGM_RSRC2:USER_SGPR: 14
; COMPUTE_PGM_RSRC2:TRAP_HANDLER: 0
; COMPUTE_PGM_RSRC2:TGID_X_EN: 1
; COMPUTE_PGM_RSRC2:TGID_Y_EN: 1
; COMPUTE_PGM_RSRC2:TGID_Z_EN: 1
; COMPUTE_PGM_RSRC2:TIDIG_COMP_CNT: 2
	.text
	.p2alignl 6, 3214868480
	.fill 48, 4, 3214868480
	.section	.AMDGPU.gpr_maximums,"",@progbits
	.set amdgpu.max_num_vgpr, 0
	.set amdgpu.max_num_agpr, 0
	.set amdgpu.max_num_sgpr, 0
	.text
	.type	__hip_cuid_588bfdbaa137770a,@object ; @__hip_cuid_588bfdbaa137770a
	.section	.bss,"aw",@nobits
	.globl	__hip_cuid_588bfdbaa137770a
__hip_cuid_588bfdbaa137770a:
	.byte	0                               ; 0x0
	.size	__hip_cuid_588bfdbaa137770a, 1

	.hidden	_Z42ncclDevFunc_Broadcast_RING_LL_Sum_i8_0_0_1v
	.hidden	_Z46ncclDevFunc_Broadcast_RING_SIMPLE_Sum_i8_0_0_1v
	.hidden	_Z43ncclDevFunc_Reduce_RING_SIMPLE_Sum_u8_0_0_1v
	.hidden	_Z44ncclDevFunc_Reduce_RING_SIMPLE_Sum_u32_0_0_1v
	.hidden	_Z44ncclDevFunc_Reduce_RING_SIMPLE_Sum_u64_0_0_1v
	.hidden	_Z44ncclDevFunc_Reduce_RING_SIMPLE_Sum_f16_0_0_1v
	.hidden	_Z44ncclDevFunc_Reduce_RING_SIMPLE_Sum_f32_0_0_1v
	.hidden	_Z44ncclDevFunc_Reduce_RING_SIMPLE_Sum_f64_0_0_1v
	.hidden	_Z45ncclDevFunc_Reduce_RING_SIMPLE_Sum_bf16_0_0_1v
	.hidden	_Z45ncclDevFunc_Reduce_RING_SIMPLE_Sum_bf16_0_1_1v
	.hidden	_Z47ncclDevFunc_Reduce_RING_SIMPLE_Sum_f8e4m3_0_0_1v
	.hidden	_Z47ncclDevFunc_Reduce_RING_SIMPLE_Sum_f8e5m2_0_0_1v
	.hidden	_Z44ncclDevFunc_Reduce_RING_SIMPLE_Prod_u8_0_0_1v
	.hidden	_Z45ncclDevFunc_Reduce_RING_SIMPLE_Prod_u32_0_0_1v
	.hidden	_Z45ncclDevFunc_Reduce_RING_SIMPLE_Prod_u64_0_0_1v
	.hidden	_Z45ncclDevFunc_Reduce_RING_SIMPLE_Prod_f16_0_0_1v
	.hidden	_Z45ncclDevFunc_Reduce_RING_SIMPLE_Prod_f32_0_0_1v
	.hidden	_Z45ncclDevFunc_Reduce_RING_SIMPLE_Prod_f64_0_0_1v
	.hidden	_Z46ncclDevFunc_Reduce_RING_SIMPLE_Prod_bf16_0_0_1v
	.hidden	_Z46ncclDevFunc_Reduce_RING_SIMPLE_Prod_bf16_0_1_1v
	.hidden	_Z48ncclDevFunc_Reduce_RING_SIMPLE_Prod_f8e4m3_0_0_1v
	.hidden	_Z48ncclDevFunc_Reduce_RING_SIMPLE_Prod_f8e5m2_0_0_1v
	.hidden	_Z46ncclDevFunc_Reduce_RING_SIMPLE_MinMax_u8_0_0_1v
	.hidden	_Z47ncclDevFunc_Reduce_RING_SIMPLE_MinMax_u32_0_0_1v
	.hidden	_Z47ncclDevFunc_Reduce_RING_SIMPLE_MinMax_u64_0_0_1v
	.hidden	_Z47ncclDevFunc_Reduce_RING_SIMPLE_MinMax_f16_0_0_1v
	.hidden	_Z47ncclDevFunc_Reduce_RING_SIMPLE_MinMax_f32_0_0_1v
	.hidden	_Z47ncclDevFunc_Reduce_RING_SIMPLE_MinMax_f64_0_0_1v
	.hidden	_Z48ncclDevFunc_Reduce_RING_SIMPLE_MinMax_bf16_0_0_1v
	.hidden	_Z48ncclDevFunc_Reduce_RING_SIMPLE_MinMax_bf16_0_1_1v
	.hidden	_Z50ncclDevFunc_Reduce_RING_SIMPLE_MinMax_f8e4m3_0_0_1v
	.hidden	_Z50ncclDevFunc_Reduce_RING_SIMPLE_MinMax_f8e5m2_0_0_1v
	.hidden	_Z49ncclDevFunc_Reduce_RING_SIMPLE_PreMulSum_u8_0_0_1v
	.hidden	_Z50ncclDevFunc_Reduce_RING_SIMPLE_PreMulSum_u32_0_0_1v
	.hidden	_Z50ncclDevFunc_Reduce_RING_SIMPLE_PreMulSum_u64_0_0_1v
	.hidden	_Z50ncclDevFunc_Reduce_RING_SIMPLE_PreMulSum_f16_0_0_1v
	.hidden	_Z50ncclDevFunc_Reduce_RING_SIMPLE_PreMulSum_f32_0_0_1v
	.hidden	_Z50ncclDevFunc_Reduce_RING_SIMPLE_PreMulSum_f64_0_0_1v
	.hidden	_Z51ncclDevFunc_Reduce_RING_SIMPLE_PreMulSum_bf16_0_0_1v
	.hidden	_Z51ncclDevFunc_Reduce_RING_SIMPLE_PreMulSum_bf16_0_1_1v
	.hidden	_Z53ncclDevFunc_Reduce_RING_SIMPLE_PreMulSum_f8e4m3_0_0_1v
	.hidden	_Z53ncclDevFunc_Reduce_RING_SIMPLE_PreMulSum_f8e5m2_0_0_1v
	.hidden	_Z50ncclDevFunc_Reduce_RING_SIMPLE_SumPostDiv_u8_0_0_1v
	.hidden	_Z51ncclDevFunc_Reduce_RING_SIMPLE_SumPostDiv_u32_0_0_1v
	.hidden	_Z51ncclDevFunc_Reduce_RING_SIMPLE_SumPostDiv_u64_0_0_1v
	.hidden	_Z42ncclDevFunc_AllGather_RING_LL_Sum_i8_0_0_1v
	.hidden	_Z46ncclDevFunc_AllGather_RING_SIMPLE_Sum_i8_0_0_1v
	.hidden	_Z41ncclDevFunc_AllGather_PAT_LL_Sum_i8_0_0_1v
	.hidden	_Z45ncclDevFunc_AllGather_PAT_SIMPLE_Sum_i8_0_0_1v
	.hidden	_Z46ncclDevFunc_ReduceScatter_RING_LL_Sum_u8_0_0_1v
	.hidden	_Z47ncclDevFunc_ReduceScatter_RING_LL_Sum_u32_0_0_1v
	.hidden	_Z47ncclDevFunc_ReduceScatter_RING_LL_Sum_u64_0_0_1v
	.hidden	_Z47ncclDevFunc_ReduceScatter_RING_LL_Sum_f16_0_0_1v
	.hidden	_Z47ncclDevFunc_ReduceScatter_RING_LL_Sum_f32_0_0_1v
	.hidden	_Z47ncclDevFunc_ReduceScatter_RING_LL_Sum_f64_0_0_1v
	.hidden	_Z48ncclDevFunc_ReduceScatter_RING_LL_Sum_bf16_0_0_1v
	.hidden	_Z50ncclDevFunc_ReduceScatter_RING_LL_Sum_f8e4m3_0_0_1v
	.hidden	_Z50ncclDevFunc_ReduceScatter_RING_LL_Sum_f8e5m2_0_0_1v
	.hidden	_Z47ncclDevFunc_ReduceScatter_RING_LL_Prod_u8_0_0_1v
	.hidden	_Z48ncclDevFunc_ReduceScatter_RING_LL_Prod_u32_0_0_1v
	.hidden	_Z48ncclDevFunc_ReduceScatter_RING_LL_Prod_u64_0_0_1v
	.hidden	_Z48ncclDevFunc_ReduceScatter_RING_LL_Prod_f16_0_0_1v
	.hidden	_Z48ncclDevFunc_ReduceScatter_RING_LL_Prod_f32_0_0_1v
	.hidden	_Z48ncclDevFunc_ReduceScatter_RING_LL_Prod_f64_0_0_1v
	.hidden	_Z49ncclDevFunc_ReduceScatter_RING_LL_Prod_bf16_0_0_1v
	.hidden	_Z51ncclDevFunc_ReduceScatter_RING_LL_Prod_f8e4m3_0_0_1v
	.hidden	_Z51ncclDevFunc_ReduceScatter_RING_LL_Prod_f8e5m2_0_0_1v
	.hidden	_Z49ncclDevFunc_ReduceScatter_RING_LL_MinMax_u8_0_0_1v
	.hidden	_Z50ncclDevFunc_ReduceScatter_RING_LL_MinMax_u32_0_0_1v
	.hidden	_Z50ncclDevFunc_ReduceScatter_RING_LL_MinMax_u64_0_0_1v
	.hidden	_Z50ncclDevFunc_ReduceScatter_RING_LL_MinMax_f16_0_0_1v
	.hidden	_Z50ncclDevFunc_ReduceScatter_RING_LL_MinMax_f32_0_0_1v
	.hidden	_Z50ncclDevFunc_ReduceScatter_RING_LL_MinMax_f64_0_0_1v
	.hidden	_Z51ncclDevFunc_ReduceScatter_RING_LL_MinMax_bf16_0_0_1v
	.hidden	_Z53ncclDevFunc_ReduceScatter_RING_LL_MinMax_f8e4m3_0_0_1v
	.hidden	_Z53ncclDevFunc_ReduceScatter_RING_LL_MinMax_f8e5m2_0_0_1v
	.hidden	_Z52ncclDevFunc_ReduceScatter_RING_LL_PreMulSum_u8_0_0_1v
	.hidden	_Z53ncclDevFunc_ReduceScatter_RING_LL_PreMulSum_u32_0_0_1v
	.hidden	_Z53ncclDevFunc_ReduceScatter_RING_LL_PreMulSum_u64_0_0_1v
	.hidden	_Z53ncclDevFunc_ReduceScatter_RING_LL_PreMulSum_f16_0_0_1v
	.hidden	_Z53ncclDevFunc_ReduceScatter_RING_LL_PreMulSum_f32_0_0_1v
	.hidden	_Z53ncclDevFunc_ReduceScatter_RING_LL_PreMulSum_f64_0_0_1v
	.hidden	_Z54ncclDevFunc_ReduceScatter_RING_LL_PreMulSum_bf16_0_0_1v
	.hidden	_Z56ncclDevFunc_ReduceScatter_RING_LL_PreMulSum_f8e4m3_0_0_1v
	.hidden	_Z56ncclDevFunc_ReduceScatter_RING_LL_PreMulSum_f8e5m2_0_0_1v
	.hidden	_Z53ncclDevFunc_ReduceScatter_RING_LL_SumPostDiv_u8_0_0_1v
	.hidden	_Z54ncclDevFunc_ReduceScatter_RING_LL_SumPostDiv_u32_0_0_1v
	.hidden	_Z54ncclDevFunc_ReduceScatter_RING_LL_SumPostDiv_u64_0_0_1v
	.hidden	_Z46ncclDevFunc_AllReduce_RING_SIMPLE_Sum_u8_0_0_1v
	.hidden	_Z47ncclDevFunc_AllReduce_RING_SIMPLE_Sum_u32_0_0_1v
	.hidden	_Z47ncclDevFunc_AllReduce_RING_SIMPLE_Sum_u64_0_0_1v
	.hidden	_Z47ncclDevFunc_AllReduce_RING_SIMPLE_Sum_f16_0_0_1v
	.hidden	_Z47ncclDevFunc_AllReduce_RING_SIMPLE_Sum_f32_0_0_1v
	.hidden	_Z47ncclDevFunc_AllReduce_RING_SIMPLE_Sum_f64_0_0_1v
	.hidden	_Z48ncclDevFunc_AllReduce_RING_SIMPLE_Sum_bf16_0_0_1v
	.hidden	_Z48ncclDevFunc_AllReduce_RING_SIMPLE_Sum_bf16_0_1_1v
	.hidden	_Z50ncclDevFunc_AllReduce_RING_SIMPLE_Sum_f8e4m3_0_0_1v
	.hidden	_Z50ncclDevFunc_AllReduce_RING_SIMPLE_Sum_f8e5m2_0_0_1v
	.hidden	_Z47ncclDevFunc_AllReduce_RING_SIMPLE_Prod_u8_0_0_1v
	.hidden	_Z48ncclDevFunc_AllReduce_RING_SIMPLE_Prod_u32_0_0_1v
	.hidden	_Z48ncclDevFunc_AllReduce_RING_SIMPLE_Prod_u64_0_0_1v
	.hidden	_Z48ncclDevFunc_AllReduce_RING_SIMPLE_Prod_f16_0_0_1v
	.hidden	_Z48ncclDevFunc_AllReduce_RING_SIMPLE_Prod_f32_0_0_1v
	.hidden	_Z48ncclDevFunc_AllReduce_RING_SIMPLE_Prod_f64_0_0_1v
	.hidden	_Z49ncclDevFunc_AllReduce_RING_SIMPLE_Prod_bf16_0_0_1v
	.hidden	_Z49ncclDevFunc_AllReduce_RING_SIMPLE_Prod_bf16_0_1_1v
	.hidden	_Z51ncclDevFunc_AllReduce_RING_SIMPLE_Prod_f8e4m3_0_0_1v
	.hidden	_Z51ncclDevFunc_AllReduce_RING_SIMPLE_Prod_f8e5m2_0_0_1v
	.hidden	_Z49ncclDevFunc_AllReduce_RING_SIMPLE_MinMax_u8_0_0_1v
	.hidden	_Z50ncclDevFunc_AllReduce_RING_SIMPLE_MinMax_u32_0_0_1v
	.hidden	_Z50ncclDevFunc_AllReduce_RING_SIMPLE_MinMax_u64_0_0_1v
	.hidden	_Z50ncclDevFunc_AllReduce_RING_SIMPLE_MinMax_f16_0_0_1v
	.hidden	_Z50ncclDevFunc_AllReduce_RING_SIMPLE_MinMax_f32_0_0_1v
	.hidden	_Z50ncclDevFunc_AllReduce_RING_SIMPLE_MinMax_f64_0_0_1v
	.hidden	_Z51ncclDevFunc_AllReduce_RING_SIMPLE_MinMax_bf16_0_0_1v
	.hidden	_Z51ncclDevFunc_AllReduce_RING_SIMPLE_MinMax_bf16_0_1_1v
	.hidden	_Z53ncclDevFunc_AllReduce_RING_SIMPLE_MinMax_f8e4m3_0_0_1v
	.hidden	_Z53ncclDevFunc_AllReduce_RING_SIMPLE_MinMax_f8e5m2_0_0_1v
	.hidden	_Z52ncclDevFunc_AllReduce_RING_SIMPLE_PreMulSum_u8_0_0_1v
	.hidden	_Z53ncclDevFunc_AllReduce_RING_SIMPLE_PreMulSum_u32_0_0_1v
	.hidden	_Z53ncclDevFunc_AllReduce_RING_SIMPLE_PreMulSum_u64_0_0_1v
	.hidden	_Z53ncclDevFunc_AllReduce_RING_SIMPLE_PreMulSum_f16_0_0_1v
	.hidden	_Z53ncclDevFunc_AllReduce_RING_SIMPLE_PreMulSum_f32_0_0_1v
	.hidden	_Z53ncclDevFunc_AllReduce_RING_SIMPLE_PreMulSum_f64_0_0_1v
	.hidden	_Z54ncclDevFunc_AllReduce_RING_SIMPLE_PreMulSum_bf16_0_0_1v
	.hidden	_Z54ncclDevFunc_AllReduce_RING_SIMPLE_PreMulSum_bf16_0_1_1v
	.hidden	_Z56ncclDevFunc_AllReduce_RING_SIMPLE_PreMulSum_f8e4m3_0_0_1v
	.hidden	_Z56ncclDevFunc_AllReduce_RING_SIMPLE_PreMulSum_f8e5m2_0_0_1v
	.hidden	_Z53ncclDevFunc_AllReduce_RING_SIMPLE_SumPostDiv_u8_0_0_1v
	.hidden	_Z54ncclDevFunc_AllReduce_RING_SIMPLE_SumPostDiv_u32_0_0_1v
	.hidden	_Z54ncclDevFunc_AllReduce_RING_SIMPLE_SumPostDiv_u64_0_0_1v
	.hidden	_Z45ncclDevFunc_SendRecv_RING_SIMPLE_Sum_i8_0_0_1v
	.hidden	_Z50ncclDevFunc_AlltoAllPivot_RING_SIMPLE_Sum_i8_0_0_1v
	.hidden	_Z42ncclDevFunc_Broadcast_RING_LL_Sum_i8_0_0_2v
	.hidden	_Z46ncclDevFunc_Broadcast_RING_SIMPLE_Sum_i8_0_0_2v
	.hidden	_Z43ncclDevFunc_Reduce_RING_SIMPLE_Sum_u8_0_0_2v
	.hidden	_Z44ncclDevFunc_Reduce_RING_SIMPLE_Sum_u32_0_0_2v
	.hidden	_Z44ncclDevFunc_Reduce_RING_SIMPLE_Sum_u64_0_0_2v
	.hidden	_Z44ncclDevFunc_Reduce_RING_SIMPLE_Sum_f16_0_0_2v
	.hidden	_Z44ncclDevFunc_Reduce_RING_SIMPLE_Sum_f32_0_0_2v
	.hidden	_Z44ncclDevFunc_Reduce_RING_SIMPLE_Sum_f64_0_0_2v
	.hidden	_Z45ncclDevFunc_Reduce_RING_SIMPLE_Sum_bf16_0_0_2v
	.hidden	_Z45ncclDevFunc_Reduce_RING_SIMPLE_Sum_bf16_0_1_2v
	.hidden	_Z47ncclDevFunc_Reduce_RING_SIMPLE_Sum_f8e4m3_0_0_2v
	.hidden	_Z47ncclDevFunc_Reduce_RING_SIMPLE_Sum_f8e5m2_0_0_2v
	.hidden	_Z44ncclDevFunc_Reduce_RING_SIMPLE_Prod_u8_0_0_2v
	.hidden	_Z45ncclDevFunc_Reduce_RING_SIMPLE_Prod_u32_0_0_2v
	.hidden	_Z45ncclDevFunc_Reduce_RING_SIMPLE_Prod_u64_0_0_2v
	.hidden	_Z45ncclDevFunc_Reduce_RING_SIMPLE_Prod_f16_0_0_2v
	.hidden	_Z45ncclDevFunc_Reduce_RING_SIMPLE_Prod_f32_0_0_2v
	.hidden	_Z45ncclDevFunc_Reduce_RING_SIMPLE_Prod_f64_0_0_2v
	.hidden	_Z46ncclDevFunc_Reduce_RING_SIMPLE_Prod_bf16_0_0_2v
	.hidden	_Z46ncclDevFunc_Reduce_RING_SIMPLE_Prod_bf16_0_1_2v
	.hidden	_Z48ncclDevFunc_Reduce_RING_SIMPLE_Prod_f8e4m3_0_0_2v
	.hidden	_Z48ncclDevFunc_Reduce_RING_SIMPLE_Prod_f8e5m2_0_0_2v
	.hidden	_Z46ncclDevFunc_Reduce_RING_SIMPLE_MinMax_u8_0_0_2v
	.hidden	_Z47ncclDevFunc_Reduce_RING_SIMPLE_MinMax_u32_0_0_2v
	.hidden	_Z47ncclDevFunc_Reduce_RING_SIMPLE_MinMax_u64_0_0_2v
	.hidden	_Z47ncclDevFunc_Reduce_RING_SIMPLE_MinMax_f16_0_0_2v
	.hidden	_Z47ncclDevFunc_Reduce_RING_SIMPLE_MinMax_f32_0_0_2v
	.hidden	_Z47ncclDevFunc_Reduce_RING_SIMPLE_MinMax_f64_0_0_2v
	.hidden	_Z48ncclDevFunc_Reduce_RING_SIMPLE_MinMax_bf16_0_0_2v
	.hidden	_Z48ncclDevFunc_Reduce_RING_SIMPLE_MinMax_bf16_0_1_2v
	.hidden	_Z50ncclDevFunc_Reduce_RING_SIMPLE_MinMax_f8e4m3_0_0_2v
	.hidden	_Z50ncclDevFunc_Reduce_RING_SIMPLE_MinMax_f8e5m2_0_0_2v
	.hidden	_Z49ncclDevFunc_Reduce_RING_SIMPLE_PreMulSum_u8_0_0_2v
	.hidden	_Z50ncclDevFunc_Reduce_RING_SIMPLE_PreMulSum_u32_0_0_2v
	.hidden	_Z50ncclDevFunc_Reduce_RING_SIMPLE_PreMulSum_u64_0_0_2v
	.hidden	_Z50ncclDevFunc_Reduce_RING_SIMPLE_PreMulSum_f16_0_0_2v
	.hidden	_Z50ncclDevFunc_Reduce_RING_SIMPLE_PreMulSum_f32_0_0_2v
	.hidden	_Z50ncclDevFunc_Reduce_RING_SIMPLE_PreMulSum_f64_0_0_2v
	.hidden	_Z51ncclDevFunc_Reduce_RING_SIMPLE_PreMulSum_bf16_0_0_2v
	.hidden	_Z51ncclDevFunc_Reduce_RING_SIMPLE_PreMulSum_bf16_0_1_2v
	.hidden	_Z53ncclDevFunc_Reduce_RING_SIMPLE_PreMulSum_f8e4m3_0_0_2v
	.hidden	_Z53ncclDevFunc_Reduce_RING_SIMPLE_PreMulSum_f8e5m2_0_0_2v
	.hidden	_Z50ncclDevFunc_Reduce_RING_SIMPLE_SumPostDiv_u8_0_0_2v
	.hidden	_Z51ncclDevFunc_Reduce_RING_SIMPLE_SumPostDiv_u32_0_0_2v
	.hidden	_Z51ncclDevFunc_Reduce_RING_SIMPLE_SumPostDiv_u64_0_0_2v
	.hidden	_Z42ncclDevFunc_AllGather_RING_LL_Sum_i8_0_0_2v
	.hidden	_Z46ncclDevFunc_AllGather_RING_SIMPLE_Sum_i8_0_0_2v
	.hidden	_Z41ncclDevFunc_AllGather_PAT_LL_Sum_i8_0_0_2v
	.hidden	_Z45ncclDevFunc_AllGather_PAT_SIMPLE_Sum_i8_0_0_2v
	.hidden	_Z46ncclDevFunc_ReduceScatter_RING_LL_Sum_u8_0_0_2v
	.hidden	_Z47ncclDevFunc_ReduceScatter_RING_LL_Sum_u32_0_0_2v
	.hidden	_Z47ncclDevFunc_ReduceScatter_RING_LL_Sum_u64_0_0_2v
	.hidden	_Z47ncclDevFunc_ReduceScatter_RING_LL_Sum_f16_0_0_2v
	.hidden	_Z47ncclDevFunc_ReduceScatter_RING_LL_Sum_f32_0_0_2v
	.hidden	_Z47ncclDevFunc_ReduceScatter_RING_LL_Sum_f64_0_0_2v
	.hidden	_Z48ncclDevFunc_ReduceScatter_RING_LL_Sum_bf16_0_0_2v
	.hidden	_Z50ncclDevFunc_ReduceScatter_RING_LL_Sum_f8e4m3_0_0_2v
	.hidden	_Z50ncclDevFunc_ReduceScatter_RING_LL_Sum_f8e5m2_0_0_2v
	.hidden	_Z47ncclDevFunc_ReduceScatter_RING_LL_Prod_u8_0_0_2v
	.hidden	_Z48ncclDevFunc_ReduceScatter_RING_LL_Prod_u32_0_0_2v
	.hidden	_Z48ncclDevFunc_ReduceScatter_RING_LL_Prod_u64_0_0_2v
	.hidden	_Z48ncclDevFunc_ReduceScatter_RING_LL_Prod_f16_0_0_2v
	.hidden	_Z48ncclDevFunc_ReduceScatter_RING_LL_Prod_f32_0_0_2v
	.hidden	_Z48ncclDevFunc_ReduceScatter_RING_LL_Prod_f64_0_0_2v
	.hidden	_Z49ncclDevFunc_ReduceScatter_RING_LL_Prod_bf16_0_0_2v
	.hidden	_Z51ncclDevFunc_ReduceScatter_RING_LL_Prod_f8e4m3_0_0_2v
	.hidden	_Z51ncclDevFunc_ReduceScatter_RING_LL_Prod_f8e5m2_0_0_2v
	.hidden	_Z49ncclDevFunc_ReduceScatter_RING_LL_MinMax_u8_0_0_2v
	.hidden	_Z50ncclDevFunc_ReduceScatter_RING_LL_MinMax_u32_0_0_2v
	.hidden	_Z50ncclDevFunc_ReduceScatter_RING_LL_MinMax_u64_0_0_2v
	.hidden	_Z50ncclDevFunc_ReduceScatter_RING_LL_MinMax_f16_0_0_2v
	.hidden	_Z50ncclDevFunc_ReduceScatter_RING_LL_MinMax_f32_0_0_2v
	.hidden	_Z50ncclDevFunc_ReduceScatter_RING_LL_MinMax_f64_0_0_2v
	.hidden	_Z51ncclDevFunc_ReduceScatter_RING_LL_MinMax_bf16_0_0_2v
	.hidden	_Z53ncclDevFunc_ReduceScatter_RING_LL_MinMax_f8e4m3_0_0_2v
	.hidden	_Z53ncclDevFunc_ReduceScatter_RING_LL_MinMax_f8e5m2_0_0_2v
	.hidden	_Z52ncclDevFunc_ReduceScatter_RING_LL_PreMulSum_u8_0_0_2v
	.hidden	_Z53ncclDevFunc_ReduceScatter_RING_LL_PreMulSum_u32_0_0_2v
	.hidden	_Z53ncclDevFunc_ReduceScatter_RING_LL_PreMulSum_u64_0_0_2v
	.hidden	_Z53ncclDevFunc_ReduceScatter_RING_LL_PreMulSum_f16_0_0_2v
	.hidden	_Z53ncclDevFunc_ReduceScatter_RING_LL_PreMulSum_f32_0_0_2v
	.hidden	_Z53ncclDevFunc_ReduceScatter_RING_LL_PreMulSum_f64_0_0_2v
	.hidden	_Z54ncclDevFunc_ReduceScatter_RING_LL_PreMulSum_bf16_0_0_2v
	.hidden	_Z56ncclDevFunc_ReduceScatter_RING_LL_PreMulSum_f8e4m3_0_0_2v
	.hidden	_Z56ncclDevFunc_ReduceScatter_RING_LL_PreMulSum_f8e5m2_0_0_2v
	.hidden	_Z53ncclDevFunc_ReduceScatter_RING_LL_SumPostDiv_u8_0_0_2v
	.hidden	_Z54ncclDevFunc_ReduceScatter_RING_LL_SumPostDiv_u32_0_0_2v
	.hidden	_Z54ncclDevFunc_ReduceScatter_RING_LL_SumPostDiv_u64_0_0_2v
	.hidden	_Z46ncclDevFunc_AllReduce_RING_SIMPLE_Sum_u8_0_0_2v
	.hidden	_Z47ncclDevFunc_AllReduce_RING_SIMPLE_Sum_u32_0_0_2v
	.hidden	_Z47ncclDevFunc_AllReduce_RING_SIMPLE_Sum_u64_0_0_2v
	.hidden	_Z47ncclDevFunc_AllReduce_RING_SIMPLE_Sum_f16_0_0_2v
	.hidden	_Z47ncclDevFunc_AllReduce_RING_SIMPLE_Sum_f32_0_0_2v
	.hidden	_Z47ncclDevFunc_AllReduce_RING_SIMPLE_Sum_f64_0_0_2v
	.hidden	_Z48ncclDevFunc_AllReduce_RING_SIMPLE_Sum_bf16_0_0_2v
	.hidden	_Z48ncclDevFunc_AllReduce_RING_SIMPLE_Sum_bf16_0_1_2v
	.hidden	_Z50ncclDevFunc_AllReduce_RING_SIMPLE_Sum_f8e4m3_0_0_2v
	.hidden	_Z50ncclDevFunc_AllReduce_RING_SIMPLE_Sum_f8e5m2_0_0_2v
	.hidden	_Z47ncclDevFunc_AllReduce_RING_SIMPLE_Prod_u8_0_0_2v
	.hidden	_Z48ncclDevFunc_AllReduce_RING_SIMPLE_Prod_u32_0_0_2v
	.hidden	_Z48ncclDevFunc_AllReduce_RING_SIMPLE_Prod_u64_0_0_2v
	.hidden	_Z48ncclDevFunc_AllReduce_RING_SIMPLE_Prod_f16_0_0_2v
	.hidden	_Z48ncclDevFunc_AllReduce_RING_SIMPLE_Prod_f32_0_0_2v
	.hidden	_Z48ncclDevFunc_AllReduce_RING_SIMPLE_Prod_f64_0_0_2v
	.hidden	_Z49ncclDevFunc_AllReduce_RING_SIMPLE_Prod_bf16_0_0_2v
	.hidden	_Z49ncclDevFunc_AllReduce_RING_SIMPLE_Prod_bf16_0_1_2v
	.hidden	_Z51ncclDevFunc_AllReduce_RING_SIMPLE_Prod_f8e4m3_0_0_2v
	.hidden	_Z51ncclDevFunc_AllReduce_RING_SIMPLE_Prod_f8e5m2_0_0_2v
	.hidden	_Z49ncclDevFunc_AllReduce_RING_SIMPLE_MinMax_u8_0_0_2v
	.hidden	_Z50ncclDevFunc_AllReduce_RING_SIMPLE_MinMax_u32_0_0_2v
	.hidden	_Z50ncclDevFunc_AllReduce_RING_SIMPLE_MinMax_u64_0_0_2v
	.hidden	_Z50ncclDevFunc_AllReduce_RING_SIMPLE_MinMax_f16_0_0_2v
	.hidden	_Z50ncclDevFunc_AllReduce_RING_SIMPLE_MinMax_f32_0_0_2v
	.hidden	_Z50ncclDevFunc_AllReduce_RING_SIMPLE_MinMax_f64_0_0_2v
	.hidden	_Z51ncclDevFunc_AllReduce_RING_SIMPLE_MinMax_bf16_0_0_2v
	.hidden	_Z51ncclDevFunc_AllReduce_RING_SIMPLE_MinMax_bf16_0_1_2v
	.hidden	_Z53ncclDevFunc_AllReduce_RING_SIMPLE_MinMax_f8e4m3_0_0_2v
	.hidden	_Z53ncclDevFunc_AllReduce_RING_SIMPLE_MinMax_f8e5m2_0_0_2v
	.hidden	_Z52ncclDevFunc_AllReduce_RING_SIMPLE_PreMulSum_u8_0_0_2v
	.hidden	_Z53ncclDevFunc_AllReduce_RING_SIMPLE_PreMulSum_u32_0_0_2v
	.hidden	_Z53ncclDevFunc_AllReduce_RING_SIMPLE_PreMulSum_u64_0_0_2v
	.hidden	_Z53ncclDevFunc_AllReduce_RING_SIMPLE_PreMulSum_f16_0_0_2v
	.hidden	_Z53ncclDevFunc_AllReduce_RING_SIMPLE_PreMulSum_f32_0_0_2v
	.hidden	_Z53ncclDevFunc_AllReduce_RING_SIMPLE_PreMulSum_f64_0_0_2v
	.hidden	_Z54ncclDevFunc_AllReduce_RING_SIMPLE_PreMulSum_bf16_0_0_2v
	.hidden	_Z54ncclDevFunc_AllReduce_RING_SIMPLE_PreMulSum_bf16_0_1_2v
	.hidden	_Z56ncclDevFunc_AllReduce_RING_SIMPLE_PreMulSum_f8e4m3_0_0_2v
	.hidden	_Z56ncclDevFunc_AllReduce_RING_SIMPLE_PreMulSum_f8e5m2_0_0_2v
	.hidden	_Z53ncclDevFunc_AllReduce_RING_SIMPLE_SumPostDiv_u8_0_0_2v
	.hidden	_Z54ncclDevFunc_AllReduce_RING_SIMPLE_SumPostDiv_u32_0_0_2v
	.hidden	_Z54ncclDevFunc_AllReduce_RING_SIMPLE_SumPostDiv_u64_0_0_2v
	.hidden	_Z45ncclDevFunc_SendRecv_RING_SIMPLE_Sum_i8_0_0_2v
	.hidden	_Z50ncclDevFunc_AlltoAllPivot_RING_SIMPLE_Sum_i8_0_0_2v
	.hidden	_Z42ncclDevFunc_Broadcast_RING_LL_Sum_i8_0_0_4v
	.hidden	_Z46ncclDevFunc_Broadcast_RING_SIMPLE_Sum_i8_0_0_4v
	.hidden	_Z43ncclDevFunc_Reduce_RING_SIMPLE_Sum_u8_0_0_4v
	.hidden	_Z44ncclDevFunc_Reduce_RING_SIMPLE_Sum_u32_0_0_4v
	.hidden	_Z44ncclDevFunc_Reduce_RING_SIMPLE_Sum_u64_0_0_4v
	.hidden	_Z44ncclDevFunc_Reduce_RING_SIMPLE_Sum_f16_0_0_4v
	.hidden	_Z44ncclDevFunc_Reduce_RING_SIMPLE_Sum_f32_0_0_4v
	.hidden	_Z44ncclDevFunc_Reduce_RING_SIMPLE_Sum_f64_0_0_4v
	.hidden	_Z45ncclDevFunc_Reduce_RING_SIMPLE_Sum_bf16_0_0_4v
	.hidden	_Z45ncclDevFunc_Reduce_RING_SIMPLE_Sum_bf16_0_1_4v
	.hidden	_Z47ncclDevFunc_Reduce_RING_SIMPLE_Sum_f8e4m3_0_0_4v
	.hidden	_Z47ncclDevFunc_Reduce_RING_SIMPLE_Sum_f8e5m2_0_0_4v
	.hidden	_Z44ncclDevFunc_Reduce_RING_SIMPLE_Prod_u8_0_0_4v
	.hidden	_Z45ncclDevFunc_Reduce_RING_SIMPLE_Prod_u32_0_0_4v
	.hidden	_Z45ncclDevFunc_Reduce_RING_SIMPLE_Prod_u64_0_0_4v
	.hidden	_Z45ncclDevFunc_Reduce_RING_SIMPLE_Prod_f16_0_0_4v
	.hidden	_Z45ncclDevFunc_Reduce_RING_SIMPLE_Prod_f32_0_0_4v
	.hidden	_Z45ncclDevFunc_Reduce_RING_SIMPLE_Prod_f64_0_0_4v
	.hidden	_Z46ncclDevFunc_Reduce_RING_SIMPLE_Prod_bf16_0_0_4v
	.hidden	_Z46ncclDevFunc_Reduce_RING_SIMPLE_Prod_bf16_0_1_4v
	.hidden	_Z48ncclDevFunc_Reduce_RING_SIMPLE_Prod_f8e4m3_0_0_4v
	.hidden	_Z48ncclDevFunc_Reduce_RING_SIMPLE_Prod_f8e5m2_0_0_4v
	.hidden	_Z46ncclDevFunc_Reduce_RING_SIMPLE_MinMax_u8_0_0_4v
	.hidden	_Z47ncclDevFunc_Reduce_RING_SIMPLE_MinMax_u32_0_0_4v
	.hidden	_Z47ncclDevFunc_Reduce_RING_SIMPLE_MinMax_u64_0_0_4v
	.hidden	_Z47ncclDevFunc_Reduce_RING_SIMPLE_MinMax_f16_0_0_4v
	.hidden	_Z47ncclDevFunc_Reduce_RING_SIMPLE_MinMax_f32_0_0_4v
	.hidden	_Z47ncclDevFunc_Reduce_RING_SIMPLE_MinMax_f64_0_0_4v
	.hidden	_Z48ncclDevFunc_Reduce_RING_SIMPLE_MinMax_bf16_0_0_4v
	.hidden	_Z48ncclDevFunc_Reduce_RING_SIMPLE_MinMax_bf16_0_1_4v
	.hidden	_Z50ncclDevFunc_Reduce_RING_SIMPLE_MinMax_f8e4m3_0_0_4v
	.hidden	_Z50ncclDevFunc_Reduce_RING_SIMPLE_MinMax_f8e5m2_0_0_4v
	.hidden	_Z49ncclDevFunc_Reduce_RING_SIMPLE_PreMulSum_u8_0_0_4v
	.hidden	_Z50ncclDevFunc_Reduce_RING_SIMPLE_PreMulSum_u32_0_0_4v
	.hidden	_Z50ncclDevFunc_Reduce_RING_SIMPLE_PreMulSum_u64_0_0_4v
	.hidden	_Z50ncclDevFunc_Reduce_RING_SIMPLE_PreMulSum_f16_0_0_4v
	.hidden	_Z50ncclDevFunc_Reduce_RING_SIMPLE_PreMulSum_f32_0_0_4v
	.hidden	_Z50ncclDevFunc_Reduce_RING_SIMPLE_PreMulSum_f64_0_0_4v
	.hidden	_Z51ncclDevFunc_Reduce_RING_SIMPLE_PreMulSum_bf16_0_0_4v
	.hidden	_Z51ncclDevFunc_Reduce_RING_SIMPLE_PreMulSum_bf16_0_1_4v
	.hidden	_Z53ncclDevFunc_Reduce_RING_SIMPLE_PreMulSum_f8e4m3_0_0_4v
	.hidden	_Z53ncclDevFunc_Reduce_RING_SIMPLE_PreMulSum_f8e5m2_0_0_4v
	.hidden	_Z50ncclDevFunc_Reduce_RING_SIMPLE_SumPostDiv_u8_0_0_4v
	.hidden	_Z51ncclDevFunc_Reduce_RING_SIMPLE_SumPostDiv_u32_0_0_4v
	.hidden	_Z51ncclDevFunc_Reduce_RING_SIMPLE_SumPostDiv_u64_0_0_4v
	.hidden	_Z42ncclDevFunc_AllGather_RING_LL_Sum_i8_0_0_4v
	.hidden	_Z46ncclDevFunc_AllGather_RING_SIMPLE_Sum_i8_0_0_4v
	.hidden	_Z41ncclDevFunc_AllGather_PAT_LL_Sum_i8_0_0_4v
	.hidden	_Z45ncclDevFunc_AllGather_PAT_SIMPLE_Sum_i8_0_0_4v
	.hidden	_Z46ncclDevFunc_ReduceScatter_RING_LL_Sum_u8_0_0_4v
	.hidden	_Z47ncclDevFunc_ReduceScatter_RING_LL_Sum_u32_0_0_4v
	.hidden	_Z47ncclDevFunc_ReduceScatter_RING_LL_Sum_u64_0_0_4v
	.hidden	_Z47ncclDevFunc_ReduceScatter_RING_LL_Sum_f16_0_0_4v
	.hidden	_Z47ncclDevFunc_ReduceScatter_RING_LL_Sum_f32_0_0_4v
	.hidden	_Z47ncclDevFunc_ReduceScatter_RING_LL_Sum_f64_0_0_4v
	.hidden	_Z48ncclDevFunc_ReduceScatter_RING_LL_Sum_bf16_0_0_4v
	.hidden	_Z50ncclDevFunc_ReduceScatter_RING_LL_Sum_f8e4m3_0_0_4v
	.hidden	_Z50ncclDevFunc_ReduceScatter_RING_LL_Sum_f8e5m2_0_0_4v
	.hidden	_Z47ncclDevFunc_ReduceScatter_RING_LL_Prod_u8_0_0_4v
	.hidden	_Z48ncclDevFunc_ReduceScatter_RING_LL_Prod_u32_0_0_4v
	.hidden	_Z48ncclDevFunc_ReduceScatter_RING_LL_Prod_u64_0_0_4v
	.hidden	_Z48ncclDevFunc_ReduceScatter_RING_LL_Prod_f16_0_0_4v
	.hidden	_Z48ncclDevFunc_ReduceScatter_RING_LL_Prod_f32_0_0_4v
	.hidden	_Z48ncclDevFunc_ReduceScatter_RING_LL_Prod_f64_0_0_4v
	.hidden	_Z49ncclDevFunc_ReduceScatter_RING_LL_Prod_bf16_0_0_4v
	.hidden	_Z51ncclDevFunc_ReduceScatter_RING_LL_Prod_f8e4m3_0_0_4v
	.hidden	_Z51ncclDevFunc_ReduceScatter_RING_LL_Prod_f8e5m2_0_0_4v
	.hidden	_Z49ncclDevFunc_ReduceScatter_RING_LL_MinMax_u8_0_0_4v
	.hidden	_Z50ncclDevFunc_ReduceScatter_RING_LL_MinMax_u32_0_0_4v
	.hidden	_Z50ncclDevFunc_ReduceScatter_RING_LL_MinMax_u64_0_0_4v
	.hidden	_Z50ncclDevFunc_ReduceScatter_RING_LL_MinMax_f16_0_0_4v
	.hidden	_Z50ncclDevFunc_ReduceScatter_RING_LL_MinMax_f32_0_0_4v
	.hidden	_Z50ncclDevFunc_ReduceScatter_RING_LL_MinMax_f64_0_0_4v
	.hidden	_Z51ncclDevFunc_ReduceScatter_RING_LL_MinMax_bf16_0_0_4v
	.hidden	_Z53ncclDevFunc_ReduceScatter_RING_LL_MinMax_f8e4m3_0_0_4v
	.hidden	_Z53ncclDevFunc_ReduceScatter_RING_LL_MinMax_f8e5m2_0_0_4v
	.hidden	_Z52ncclDevFunc_ReduceScatter_RING_LL_PreMulSum_u8_0_0_4v
	.hidden	_Z53ncclDevFunc_ReduceScatter_RING_LL_PreMulSum_u32_0_0_4v
	.hidden	_Z53ncclDevFunc_ReduceScatter_RING_LL_PreMulSum_u64_0_0_4v
	.hidden	_Z53ncclDevFunc_ReduceScatter_RING_LL_PreMulSum_f16_0_0_4v
	.hidden	_Z53ncclDevFunc_ReduceScatter_RING_LL_PreMulSum_f32_0_0_4v
	.hidden	_Z53ncclDevFunc_ReduceScatter_RING_LL_PreMulSum_f64_0_0_4v
	.hidden	_Z54ncclDevFunc_ReduceScatter_RING_LL_PreMulSum_bf16_0_0_4v
	.hidden	_Z56ncclDevFunc_ReduceScatter_RING_LL_PreMulSum_f8e4m3_0_0_4v
	.hidden	_Z56ncclDevFunc_ReduceScatter_RING_LL_PreMulSum_f8e5m2_0_0_4v
	.hidden	_Z53ncclDevFunc_ReduceScatter_RING_LL_SumPostDiv_u8_0_0_4v
	.hidden	_Z54ncclDevFunc_ReduceScatter_RING_LL_SumPostDiv_u32_0_0_4v
	.hidden	_Z54ncclDevFunc_ReduceScatter_RING_LL_SumPostDiv_u64_0_0_4v
	.hidden	_Z46ncclDevFunc_AllReduce_RING_SIMPLE_Sum_u8_0_0_4v
	.hidden	_Z47ncclDevFunc_AllReduce_RING_SIMPLE_Sum_u32_0_0_4v
	.hidden	_Z47ncclDevFunc_AllReduce_RING_SIMPLE_Sum_u64_0_0_4v
	.hidden	_Z47ncclDevFunc_AllReduce_RING_SIMPLE_Sum_f16_0_0_4v
	.hidden	_Z47ncclDevFunc_AllReduce_RING_SIMPLE_Sum_f32_0_0_4v
	.hidden	_Z47ncclDevFunc_AllReduce_RING_SIMPLE_Sum_f64_0_0_4v
	.hidden	_Z48ncclDevFunc_AllReduce_RING_SIMPLE_Sum_bf16_0_0_4v
	.hidden	_Z48ncclDevFunc_AllReduce_RING_SIMPLE_Sum_bf16_0_1_4v
	.hidden	_Z50ncclDevFunc_AllReduce_RING_SIMPLE_Sum_f8e4m3_0_0_4v
	.hidden	_Z50ncclDevFunc_AllReduce_RING_SIMPLE_Sum_f8e5m2_0_0_4v
	.hidden	_Z47ncclDevFunc_AllReduce_RING_SIMPLE_Prod_u8_0_0_4v
	.hidden	_Z48ncclDevFunc_AllReduce_RING_SIMPLE_Prod_u32_0_0_4v
	.hidden	_Z48ncclDevFunc_AllReduce_RING_SIMPLE_Prod_u64_0_0_4v
	.hidden	_Z48ncclDevFunc_AllReduce_RING_SIMPLE_Prod_f16_0_0_4v
	.hidden	_Z48ncclDevFunc_AllReduce_RING_SIMPLE_Prod_f32_0_0_4v
	.hidden	_Z48ncclDevFunc_AllReduce_RING_SIMPLE_Prod_f64_0_0_4v
	.hidden	_Z49ncclDevFunc_AllReduce_RING_SIMPLE_Prod_bf16_0_0_4v
	.hidden	_Z49ncclDevFunc_AllReduce_RING_SIMPLE_Prod_bf16_0_1_4v
	.hidden	_Z51ncclDevFunc_AllReduce_RING_SIMPLE_Prod_f8e4m3_0_0_4v
	.hidden	_Z51ncclDevFunc_AllReduce_RING_SIMPLE_Prod_f8e5m2_0_0_4v
	.hidden	_Z49ncclDevFunc_AllReduce_RING_SIMPLE_MinMax_u8_0_0_4v
	.hidden	_Z50ncclDevFunc_AllReduce_RING_SIMPLE_MinMax_u32_0_0_4v
	.hidden	_Z50ncclDevFunc_AllReduce_RING_SIMPLE_MinMax_u64_0_0_4v
	.hidden	_Z50ncclDevFunc_AllReduce_RING_SIMPLE_MinMax_f16_0_0_4v
	.hidden	_Z50ncclDevFunc_AllReduce_RING_SIMPLE_MinMax_f32_0_0_4v
	.hidden	_Z50ncclDevFunc_AllReduce_RING_SIMPLE_MinMax_f64_0_0_4v
	.hidden	_Z51ncclDevFunc_AllReduce_RING_SIMPLE_MinMax_bf16_0_0_4v
	.hidden	_Z51ncclDevFunc_AllReduce_RING_SIMPLE_MinMax_bf16_0_1_4v
	.hidden	_Z53ncclDevFunc_AllReduce_RING_SIMPLE_MinMax_f8e4m3_0_0_4v
	.hidden	_Z53ncclDevFunc_AllReduce_RING_SIMPLE_MinMax_f8e5m2_0_0_4v
	.hidden	_Z52ncclDevFunc_AllReduce_RING_SIMPLE_PreMulSum_u8_0_0_4v
	.hidden	_Z53ncclDevFunc_AllReduce_RING_SIMPLE_PreMulSum_u32_0_0_4v
	.hidden	_Z53ncclDevFunc_AllReduce_RING_SIMPLE_PreMulSum_u64_0_0_4v
	.hidden	_Z53ncclDevFunc_AllReduce_RING_SIMPLE_PreMulSum_f16_0_0_4v
	.hidden	_Z53ncclDevFunc_AllReduce_RING_SIMPLE_PreMulSum_f32_0_0_4v
	.hidden	_Z53ncclDevFunc_AllReduce_RING_SIMPLE_PreMulSum_f64_0_0_4v
	.hidden	_Z54ncclDevFunc_AllReduce_RING_SIMPLE_PreMulSum_bf16_0_0_4v
	.hidden	_Z54ncclDevFunc_AllReduce_RING_SIMPLE_PreMulSum_bf16_0_1_4v
	.hidden	_Z56ncclDevFunc_AllReduce_RING_SIMPLE_PreMulSum_f8e4m3_0_0_4v
	.hidden	_Z56ncclDevFunc_AllReduce_RING_SIMPLE_PreMulSum_f8e5m2_0_0_4v
	.hidden	_Z53ncclDevFunc_AllReduce_RING_SIMPLE_SumPostDiv_u8_0_0_4v
	.hidden	_Z54ncclDevFunc_AllReduce_RING_SIMPLE_SumPostDiv_u32_0_0_4v
	.hidden	_Z54ncclDevFunc_AllReduce_RING_SIMPLE_SumPostDiv_u64_0_0_4v
	.hidden	_Z45ncclDevFunc_SendRecv_RING_SIMPLE_Sum_i8_0_0_4v
	.hidden	_Z50ncclDevFunc_AlltoAllPivot_RING_SIMPLE_Sum_i8_0_0_4v
	.ident	"AMD clang version 22.0.0git (https://github.com/RadeonOpenCompute/llvm-project roc-7.2.4 26084 f58b06dce1f9c15707c5f808fd002e18c2accf7e)"
	.section	".note.GNU-stack","",@progbits
	.addrsig
	.addrsig_sym __hip_cuid_588bfdbaa137770a
	.amdgpu_metadata
---
amdhsa.kernels:
  - .args:
      - .offset:         0
        .size:           4096
        .value_kind:     by_value
      - .offset:         4096
        .size:           4
        .value_kind:     hidden_block_count_x
      - .offset:         4100
        .size:           4
        .value_kind:     hidden_block_count_y
      - .offset:         4104
        .size:           4
        .value_kind:     hidden_block_count_z
      - .offset:         4108
        .size:           2
        .value_kind:     hidden_group_size_x
      - .offset:         4110
        .size:           2
        .value_kind:     hidden_group_size_y
      - .offset:         4112
        .size:           2
        .value_kind:     hidden_group_size_z
      - .offset:         4114
        .size:           2
        .value_kind:     hidden_remainder_x
      - .offset:         4116
        .size:           2
        .value_kind:     hidden_remainder_y
      - .offset:         4118
        .size:           2
        .value_kind:     hidden_remainder_z
      - .offset:         4136
        .size:           8
        .value_kind:     hidden_global_offset_x
      - .offset:         4144
        .size:           8
        .value_kind:     hidden_global_offset_y
      - .offset:         4152
        .size:           8
        .value_kind:     hidden_global_offset_z
      - .offset:         4160
        .size:           2
        .value_kind:     hidden_grid_dims
      - .offset:         4176
        .size:           8
        .value_kind:     hidden_hostcall_buffer
      - .offset:         4184
        .size:           8
        .value_kind:     hidden_multigrid_sync_arg
      - .offset:         4192
        .size:           8
        .value_kind:     hidden_heap_v1
      - .offset:         4200
        .size:           8
        .value_kind:     hidden_default_queue
      - .offset:         4208
        .size:           8
        .value_kind:     hidden_completion_action
      - .offset:         4296
        .size:           8
        .value_kind:     hidden_queue_ptr
    .group_segment_fixed_size: 21216
    .kernarg_segment_align: 16
    .kernarg_segment_size: 4352
    .language:       OpenCL C
    .language_version:
      - 2
      - 0
    .max_flat_workgroup_size: 256
    .name:           _Z23ncclDevKernel_Generic_124ncclDevKernelArgsStorageILm4096EE
    .private_segment_fixed_size: 0
    .sgpr_count:     68
    .sgpr_spill_count: 0
    .symbol:         _Z23ncclDevKernel_Generic_124ncclDevKernelArgsStorageILm4096EE.kd
    .uniform_work_group_size: 1
    .uses_dynamic_stack: true
    .vgpr_count:     58
    .vgpr_spill_count: 0
    .wavefront_size: 32
    .workgroup_processor_mode: 1
  - .args:
      - .offset:         0
        .size:           4096
        .value_kind:     by_value
      - .offset:         4096
        .size:           4
        .value_kind:     hidden_block_count_x
      - .offset:         4100
        .size:           4
        .value_kind:     hidden_block_count_y
      - .offset:         4104
        .size:           4
        .value_kind:     hidden_block_count_z
      - .offset:         4108
        .size:           2
        .value_kind:     hidden_group_size_x
      - .offset:         4110
        .size:           2
        .value_kind:     hidden_group_size_y
      - .offset:         4112
        .size:           2
        .value_kind:     hidden_group_size_z
      - .offset:         4114
        .size:           2
        .value_kind:     hidden_remainder_x
      - .offset:         4116
        .size:           2
        .value_kind:     hidden_remainder_y
      - .offset:         4118
        .size:           2
        .value_kind:     hidden_remainder_z
      - .offset:         4136
        .size:           8
        .value_kind:     hidden_global_offset_x
      - .offset:         4144
        .size:           8
        .value_kind:     hidden_global_offset_y
      - .offset:         4152
        .size:           8
        .value_kind:     hidden_global_offset_z
      - .offset:         4160
        .size:           2
        .value_kind:     hidden_grid_dims
      - .offset:         4176
        .size:           8
        .value_kind:     hidden_hostcall_buffer
      - .offset:         4184
        .size:           8
        .value_kind:     hidden_multigrid_sync_arg
      - .offset:         4192
        .size:           8
        .value_kind:     hidden_heap_v1
      - .offset:         4200
        .size:           8
        .value_kind:     hidden_default_queue
      - .offset:         4208
        .size:           8
        .value_kind:     hidden_completion_action
      - .offset:         4296
        .size:           8
        .value_kind:     hidden_queue_ptr
    .group_segment_fixed_size: 21216
    .kernarg_segment_align: 16
    .kernarg_segment_size: 4352
    .language:       OpenCL C
    .language_version:
      - 2
      - 0
    .max_flat_workgroup_size: 256
    .name:           _Z23ncclDevKernel_Generic_224ncclDevKernelArgsStorageILm4096EE
    .private_segment_fixed_size: 0
    .sgpr_count:     68
    .sgpr_spill_count: 0
    .symbol:         _Z23ncclDevKernel_Generic_224ncclDevKernelArgsStorageILm4096EE.kd
    .uniform_work_group_size: 1
    .uses_dynamic_stack: true
    .vgpr_count:     58
    .vgpr_spill_count: 0
    .wavefront_size: 32
    .workgroup_processor_mode: 1
  - .args:
      - .offset:         0
        .size:           4096
        .value_kind:     by_value
      - .offset:         4096
        .size:           4
        .value_kind:     hidden_block_count_x
      - .offset:         4100
        .size:           4
        .value_kind:     hidden_block_count_y
      - .offset:         4104
        .size:           4
        .value_kind:     hidden_block_count_z
      - .offset:         4108
        .size:           2
        .value_kind:     hidden_group_size_x
      - .offset:         4110
        .size:           2
        .value_kind:     hidden_group_size_y
      - .offset:         4112
        .size:           2
        .value_kind:     hidden_group_size_z
      - .offset:         4114
        .size:           2
        .value_kind:     hidden_remainder_x
      - .offset:         4116
        .size:           2
        .value_kind:     hidden_remainder_y
      - .offset:         4118
        .size:           2
        .value_kind:     hidden_remainder_z
      - .offset:         4136
        .size:           8
        .value_kind:     hidden_global_offset_x
      - .offset:         4144
        .size:           8
        .value_kind:     hidden_global_offset_y
      - .offset:         4152
        .size:           8
        .value_kind:     hidden_global_offset_z
      - .offset:         4160
        .size:           2
        .value_kind:     hidden_grid_dims
      - .offset:         4176
        .size:           8
        .value_kind:     hidden_hostcall_buffer
      - .offset:         4184
        .size:           8
        .value_kind:     hidden_multigrid_sync_arg
      - .offset:         4192
        .size:           8
        .value_kind:     hidden_heap_v1
      - .offset:         4200
        .size:           8
        .value_kind:     hidden_default_queue
      - .offset:         4208
        .size:           8
        .value_kind:     hidden_completion_action
      - .offset:         4296
        .size:           8
        .value_kind:     hidden_queue_ptr
    .group_segment_fixed_size: 21216
    .kernarg_segment_align: 16
    .kernarg_segment_size: 4352
    .language:       OpenCL C
    .language_version:
      - 2
      - 0
    .max_flat_workgroup_size: 256
    .name:           _Z23ncclDevKernel_Generic_424ncclDevKernelArgsStorageILm4096EE
    .private_segment_fixed_size: 0
    .sgpr_count:     68
    .sgpr_spill_count: 0
    .symbol:         _Z23ncclDevKernel_Generic_424ncclDevKernelArgsStorageILm4096EE.kd
    .uniform_work_group_size: 1
    .uses_dynamic_stack: true
    .vgpr_count:     58
    .vgpr_spill_count: 0
    .wavefront_size: 32
    .workgroup_processor_mode: 1
amdhsa.target:   amdgcn-amd-amdhsa--gfx1030
amdhsa.version:
  - 1
  - 2
...

	.end_amdgpu_metadata
